;; amdgpu-corpus repo=ROCm/rocFFT kind=compiled arch=gfx1201 opt=O3
	.text
	.amdgcn_target "amdgcn-amd-amdhsa--gfx1201"
	.amdhsa_code_object_version 6
	.protected	bluestein_single_back_len1014_dim1_sp_op_CI_CI ; -- Begin function bluestein_single_back_len1014_dim1_sp_op_CI_CI
	.globl	bluestein_single_back_len1014_dim1_sp_op_CI_CI
	.p2align	8
	.type	bluestein_single_back_len1014_dim1_sp_op_CI_CI,@function
bluestein_single_back_len1014_dim1_sp_op_CI_CI: ; @bluestein_single_back_len1014_dim1_sp_op_CI_CI
; %bb.0:
	s_load_b128 s[12:15], s[0:1], 0x28
	v_mul_u32_u24_e32 v1, 0x349, v0
	v_mov_b32_e32 v97, 0
	s_mov_b32 s2, exec_lo
	s_delay_alu instid0(VALU_DEP_2) | instskip(NEXT) | instid1(VALU_DEP_1)
	v_lshrrev_b32_e32 v1, 16, v1
	v_lshl_add_u32 v96, ttmp9, 1, v1
	s_wait_kmcnt 0x0
	s_delay_alu instid0(VALU_DEP_1)
	v_cmpx_gt_u64_e64 s[12:13], v[96:97]
	s_cbranch_execz .LBB0_10
; %bb.1:
	s_clause 0x1
	s_load_b128 s[4:7], s[0:1], 0x18
	s_load_b128 s[8:11], s[0:1], 0x0
	v_mul_lo_u16 v2, 0x4e, v1
	s_load_b64 s[0:1], s[0:1], 0x38
	s_delay_alu instid0(VALU_DEP_1)
	v_sub_nc_u16 v22, v0, v2
	s_wait_kmcnt 0x0
	s_load_b128 s[16:19], s[4:5], 0x0
	s_wait_kmcnt 0x0
	v_mad_co_u64_u32 v[2:3], null, s18, v96, 0
	v_and_b32_e32 v117, 0xffff, v22
	s_mul_u64 s[2:3], s[16:17], 0x270
	s_delay_alu instid0(VALU_DEP_2) | instskip(NEXT) | instid1(VALU_DEP_2)
	v_mov_b32_e32 v0, v3
	v_mad_co_u64_u32 v[4:5], null, s16, v117, 0
	v_lshlrev_b32_e32 v66, 3, v117
	s_clause 0x3
	global_load_b64 v[107:108], v66, s[8:9]
	global_load_b64 v[109:110], v66, s[8:9] offset:624
	global_load_b64 v[105:106], v66, s[8:9] offset:1248
	;; [unrolled: 1-line block ×3, first 2 shown]
	v_mov_b32_e32 v3, v5
	v_mad_co_u64_u32 v[5:6], null, s19, v96, v[0:1]
	s_clause 0x6
	global_load_b64 v[103:104], v66, s[8:9] offset:2496
	global_load_b64 v[88:89], v66, s[8:9] offset:3120
	;; [unrolled: 1-line block ×7, first 2 shown]
	v_mad_co_u64_u32 v[6:7], null, s17, v117, v[3:4]
	v_mov_b32_e32 v3, v5
	s_delay_alu instid0(VALU_DEP_2) | instskip(NEXT) | instid1(VALU_DEP_2)
	v_mov_b32_e32 v5, v6
	v_lshlrev_b64_e32 v[2:3], 3, v[2:3]
	s_delay_alu instid0(VALU_DEP_2) | instskip(NEXT) | instid1(VALU_DEP_2)
	v_lshlrev_b64_e32 v[4:5], 3, v[4:5]
	v_add_co_u32 v0, vcc_lo, s14, v2
	s_delay_alu instid0(VALU_DEP_3) | instskip(NEXT) | instid1(VALU_DEP_2)
	v_add_co_ci_u32_e32 v3, vcc_lo, s15, v3, vcc_lo
	v_add_co_u32 v2, vcc_lo, v0, v4
	s_wait_alu 0xfffd
	s_delay_alu instid0(VALU_DEP_2) | instskip(SKIP_1) | instid1(VALU_DEP_3)
	v_add_co_ci_u32_e32 v3, vcc_lo, v3, v5, vcc_lo
	v_and_b32_e32 v0, 1, v1
	v_add_co_u32 v4, vcc_lo, v2, s2
	s_wait_alu 0xfffd
	s_delay_alu instid0(VALU_DEP_3)
	v_add_co_ci_u32_e32 v5, vcc_lo, s3, v3, vcc_lo
	global_load_b64 v[2:3], v[2:3], off
	v_add_co_u32 v6, vcc_lo, v4, s2
	s_wait_alu 0xfffd
	v_add_co_ci_u32_e32 v7, vcc_lo, s3, v5, vcc_lo
	global_load_b64 v[4:5], v[4:5], off
	v_add_co_u32 v8, vcc_lo, v6, s2
	s_wait_alu 0xfffd
	v_add_co_ci_u32_e32 v9, vcc_lo, s3, v7, vcc_lo
	s_delay_alu instid0(VALU_DEP_2) | instskip(SKIP_1) | instid1(VALU_DEP_2)
	v_add_co_u32 v10, vcc_lo, v8, s2
	s_wait_alu 0xfffd
	v_add_co_ci_u32_e32 v11, vcc_lo, s3, v9, vcc_lo
	s_delay_alu instid0(VALU_DEP_2) | instskip(SKIP_1) | instid1(VALU_DEP_2)
	v_add_co_u32 v12, vcc_lo, v10, s2
	s_wait_alu 0xfffd
	v_add_co_ci_u32_e32 v13, vcc_lo, s3, v11, vcc_lo
	s_clause 0x2
	global_load_b64 v[6:7], v[6:7], off
	global_load_b64 v[8:9], v[8:9], off
	;; [unrolled: 1-line block ×3, first 2 shown]
	v_add_co_u32 v14, vcc_lo, v12, s2
	s_wait_alu 0xfffd
	v_add_co_ci_u32_e32 v15, vcc_lo, s3, v13, vcc_lo
	global_load_b64 v[12:13], v[12:13], off
	v_add_co_u32 v16, vcc_lo, v14, s2
	s_wait_alu 0xfffd
	v_add_co_ci_u32_e32 v17, vcc_lo, s3, v15, vcc_lo
	global_load_b64 v[14:15], v[14:15], off
	;; [unrolled: 4-line block ×6, first 2 shown]
	v_add_co_u32 v23, vcc_lo, v25, s2
	s_wait_alu 0xfffd
	v_add_co_ci_u32_e32 v24, vcc_lo, s3, v26, vcc_lo
	global_load_b64 v[97:98], v66, s[8:9] offset:6864
	global_load_b64 v[30:31], v[25:26], off
	global_load_b64 v[99:100], v66, s[8:9] offset:7488
	global_load_b64 v[24:25], v[23:24], off
	v_cmp_eq_u32_e32 vcc_lo, 1, v0
	s_load_b128 s[4:7], s[6:7], 0x0
	v_cndmask_b32_e64 v119, 0, 0x1fb0, vcc_lo
	v_cmp_gt_u16_e32 vcc_lo, 13, v22
	s_delay_alu instid0(VALU_DEP_2) | instskip(NEXT) | instid1(VALU_DEP_1)
	v_add_nc_u32_e32 v118, v119, v66
	v_add_nc_u32_e32 v36, 0x800, v118
	;; [unrolled: 1-line block ×3, first 2 shown]
	s_wait_loadcnt 0xe
	v_dual_mul_f32 v0, v3, v108 :: v_dual_add_nc_u32 v27, 0x1000, v118
	v_mul_f32_e32 v1, v2, v108
	s_delay_alu instid0(VALU_DEP_2) | instskip(SKIP_2) | instid1(VALU_DEP_3)
	v_dual_fmac_f32 v0, v2, v107 :: v_dual_add_nc_u32 v23, 0x1800, v118
	s_wait_loadcnt 0xd
	v_mul_f32_e32 v32, v5, v110
	v_fma_f32 v1, v3, v107, -v1
	s_delay_alu instid0(VALU_DEP_2)
	v_fmac_f32_e32 v32, v4, v109
	s_wait_loadcnt 0xc
	v_mul_f32_e32 v2, v7, v106
	v_mul_f32_e32 v3, v4, v110
	;; [unrolled: 1-line block ×3, first 2 shown]
	s_wait_loadcnt 0xb
	v_mul_f32_e32 v4, v9, v102
	v_dual_mul_f32 v35, v8, v102 :: v_dual_fmac_f32 v2, v6, v105
	s_wait_loadcnt 0xa
	v_mul_f32_e32 v6, v11, v104
	v_fma_f32 v33, v5, v109, -v3
	v_fma_f32 v3, v7, v105, -v34
	v_fma_f32 v5, v9, v101, -v35
	v_mul_f32_e32 v7, v10, v104
	v_fmac_f32_e32 v6, v10, v103
	ds_store_2addr_b64 v118, v[0:1], v[32:33] offset1:78
	s_wait_loadcnt 0x9
	v_mul_f32_e32 v0, v13, v89
	v_mul_f32_e32 v1, v12, v89
	v_fma_f32 v7, v11, v103, -v7
	s_delay_alu instid0(VALU_DEP_2)
	v_fma_f32 v1, v13, v88, -v1
	s_wait_loadcnt 0x6
	v_mul_f32_e32 v9, v18, v85
	v_fmac_f32_e32 v4, v8, v101
	v_mul_f32_e32 v8, v19, v85
	s_wait_loadcnt 0x5
	v_mul_f32_e32 v10, v21, v91
	ds_store_2addr_b64 v118, v[2:3], v[4:5] offset0:156 offset1:234
	v_mul_f32_e32 v2, v15, v93
	v_dual_mul_f32 v3, v14, v93 :: v_dual_mul_f32 v4, v17, v95
	v_mul_f32_e32 v5, v16, v95
	v_mul_f32_e32 v11, v20, v91
	v_fmac_f32_e32 v0, v12, v88
	s_delay_alu instid0(VALU_DEP_4)
	v_fma_f32 v3, v15, v92, -v3
	s_wait_loadcnt 0x4
	v_mul_f32_e32 v12, v29, v87
	v_dual_mul_f32 v13, v28, v87 :: v_dual_fmac_f32 v2, v14, v92
	s_wait_loadcnt 0x2
	v_mul_f32_e32 v14, v31, v98
	v_mul_f32_e32 v15, v30, v98
	v_fmac_f32_e32 v4, v16, v94
	v_fma_f32 v5, v17, v94, -v5
	s_wait_loadcnt 0x0
	v_mul_f32_e32 v16, v25, v100
	v_mul_f32_e32 v17, v24, v100
	v_fmac_f32_e32 v8, v18, v84
	v_fma_f32 v9, v19, v84, -v9
	v_fmac_f32_e32 v10, v20, v90
	v_fma_f32 v11, v21, v90, -v11
	;; [unrolled: 2-line block ×5, first 2 shown]
	ds_store_2addr_b64 v36, v[6:7], v[0:1] offset0:56 offset1:134
	ds_store_2addr_b64 v26, v[2:3], v[4:5] offset0:84 offset1:162
	;; [unrolled: 1-line block ×4, first 2 shown]
	ds_store_b64 v118, v[16:17] offset:7488
	global_wb scope:SCOPE_SE
	s_wait_dscnt 0x0
	s_wait_kmcnt 0x0
	s_barrier_signal -1
	s_barrier_wait -1
	global_inv scope:SCOPE_SE
	ds_load_2addr_b64 v[8:11], v118 offset1:78
	ds_load_b64 v[20:21], v118 offset:7488
	ds_load_2addr_b64 v[16:19], v118 offset0:156 offset1:234
	ds_load_2addr_b64 v[0:3], v23 offset0:12 offset1:90
	;; [unrolled: 1-line block ×5, first 2 shown]
	global_wb scope:SCOPE_SE
	s_wait_dscnt 0x0
	s_barrier_signal -1
	s_barrier_wait -1
	global_inv scope:SCOPE_SE
	v_add_f32_e32 v25, v9, v11
	v_add_f32_e32 v33, v21, v11
	v_dual_sub_f32 v11, v11, v21 :: v_dual_add_f32 v24, v8, v10
	v_add_f32_e32 v32, v20, v10
	v_dual_sub_f32 v10, v10, v20 :: v_dual_add_f32 v35, v3, v17
	s_delay_alu instid0(VALU_DEP_3) | instskip(SKIP_2) | instid1(VALU_DEP_4)
	v_mul_f32_e32 v59, 0xbf6f5d39, v11
	v_dual_sub_f32 v37, v16, v2 :: v_dual_sub_f32 v38, v17, v3
	v_add_f32_e32 v17, v25, v17
	v_dual_mul_f32 v25, 0xbeedf032, v10 :: v_dual_add_f32 v34, v2, v16
	v_mul_f32_e32 v61, 0xbf29c268, v11
	v_dual_sub_f32 v41, v18, v0 :: v_dual_sub_f32 v42, v19, v1
	v_dual_sub_f32 v45, v12, v6 :: v_dual_sub_f32 v46, v13, v7
	v_mul_f32_e32 v69, 0xbe750f2a, v37
	v_dual_sub_f32 v49, v14, v4 :: v_dual_sub_f32 v50, v15, v5
	v_mul_f32_e32 v55, 0xbf52af12, v11
	s_delay_alu instid0(VALU_DEP_4)
	v_dual_mul_f32 v111, 0xbf6f5d39, v46 :: v_dual_add_f32 v16, v24, v16
	v_dual_mul_f32 v56, 0xbf52af12, v10 :: v_dual_mul_f32 v83, 0xbf52af12, v41
	v_dual_mul_f32 v57, 0xbf7e222b, v11 :: v_dual_mul_f32 v58, 0xbf7e222b, v10
	v_mul_f32_e32 v75, 0xbf7e222b, v41
	v_mul_f32_e32 v60, 0xbf6f5d39, v10
	;; [unrolled: 1-line block ×3, first 2 shown]
	v_dual_mul_f32 v10, 0xbe750f2a, v10 :: v_dual_mul_f32 v77, 0xbe750f2a, v41
	v_dual_mul_f32 v64, 0xbf52af12, v37 :: v_dual_add_f32 v17, v17, v19
	v_dual_mul_f32 v67, 0xbf6f5d39, v37 :: v_dual_add_f32 v40, v1, v19
	v_mul_f32_e32 v63, 0xbf52af12, v38
	v_fmamk_f32 v19, v33, 0x3f62ad3f, v25
	v_fma_f32 v25, 0x3f62ad3f, v33, -v25
	v_dual_mul_f32 v24, 0xbeedf032, v11 :: v_dual_add_f32 v39, v0, v18
	v_dual_add_f32 v44, v7, v13 :: v_dual_mul_f32 v65, 0xbf6f5d39, v38
	v_dual_add_f32 v47, v4, v14 :: v_dual_add_f32 v48, v5, v15
	v_dual_mul_f32 v71, 0x3f29c268, v37 :: v_dual_sub_f32 v52, v29, v31
	v_mul_f32_e32 v73, 0x3f7e222b, v37
	v_sub_f32_e32 v53, v28, v30
	v_dual_mul_f32 v11, 0xbe750f2a, v11 :: v_dual_mul_f32 v68, 0xbe750f2a, v38
	v_mul_f32_e32 v37, 0x3eedf032, v37
	v_dual_mul_f32 v78, 0x3f6f5d39, v42 :: v_dual_mul_f32 v79, 0x3f6f5d39, v41
	v_dual_mul_f32 v80, 0x3eedf032, v42 :: v_dual_mul_f32 v121, 0x3eedf032, v45
	v_mul_f32_e32 v81, 0x3eedf032, v41
	v_dual_mul_f32 v82, 0xbf52af12, v42 :: v_dual_mul_f32 v131, 0xbf52af12, v49
	v_mul_f32_e32 v41, 0xbf29c268, v41
	v_dual_mul_f32 v115, 0x3e750f2a, v46 :: v_dual_mul_f32 v132, 0x3e750f2a, v49
	v_dual_mul_f32 v123, 0x3e750f2a, v45 :: v_dual_add_f32 v16, v16, v18
	v_dual_mul_f32 v125, 0x3f7e222b, v50 :: v_dual_mul_f32 v130, 0x3f7e222b, v49
	v_dual_mul_f32 v128, 0x3eedf032, v50 :: v_dual_mul_f32 v133, 0x3eedf032, v49
	v_mul_f32_e32 v129, 0xbf29c268, v49
	v_mul_f32_e32 v49, 0xbf6f5d39, v49
	v_fma_f32 v139, 0x3f116cb1, v32, -v55
	v_mul_f32_e32 v72, 0x3f7e222b, v38
	v_dual_fmamk_f32 v140, v33, 0x3f116cb1, v56 :: v_dual_fmac_f32 v55, 0x3f116cb1, v32
	v_mul_f32_e32 v74, 0xbf7e222b, v42
	v_fma_f32 v56, 0x3f116cb1, v33, -v56
	v_fma_f32 v141, 0x3df6dbef, v32, -v57
	v_mul_f32_e32 v76, 0xbe750f2a, v42
	v_mul_f32_e32 v42, 0xbf29c268, v42
	v_dual_fmamk_f32 v142, v33, 0x3df6dbef, v58 :: v_dual_fmac_f32 v57, 0x3df6dbef, v32
	v_fma_f32 v58, 0x3df6dbef, v33, -v58
	v_fmamk_f32 v144, v33, 0xbeb58ec6, v60
	v_fma_f32 v60, 0xbeb58ec6, v33, -v60
	v_fmamk_f32 v146, v33, 0xbf3f9e67, v62
	;; [unrolled: 2-line block ×3, first 2 shown]
	v_fma_f32 v10, 0xbf788fa5, v33, -v10
	v_add_f32_e32 v25, v9, v25
	v_fma_f32 v18, 0x3f62ad3f, v32, -v24
	v_fmac_f32_e32 v24, 0x3f62ad3f, v32
	v_dual_mul_f32 v70, 0x3f29c268, v38 :: v_dual_add_f32 v19, v9, v19
	v_mul_f32_e32 v38, 0x3eedf032, v38
	s_delay_alu instid0(VALU_DEP_3)
	v_dual_mul_f32 v127, 0x3e750f2a, v50 :: v_dual_add_f32 v24, v8, v24
	v_dual_add_f32 v43, v6, v12 :: v_dual_add_f32 v54, v31, v29
	v_mul_f32_e32 v113, 0x3eedf032, v46
	v_mul_f32_e32 v122, 0xbf7e222b, v45
	;; [unrolled: 1-line block ×3, first 2 shown]
	v_fma_f32 v143, 0xbeb58ec6, v32, -v59
	v_mul_f32_e32 v114, 0xbf7e222b, v46
	v_fmac_f32_e32 v59, 0xbeb58ec6, v32
	v_fma_f32 v145, 0xbf3f9e67, v32, -v61
	v_fmac_f32_e32 v61, 0xbf3f9e67, v32
	v_add_f32_e32 v143, v8, v143
	v_fma_f32 v147, 0xbf788fa5, v32, -v11
	v_mul_f32_e32 v120, 0x3f29c268, v45
	v_fmac_f32_e32 v11, 0xbf788fa5, v32
	v_fma_f32 v32, 0x3f116cb1, v34, -v63
	v_dual_fmamk_f32 v33, v35, 0x3f116cb1, v64 :: v_dual_fmamk_f32 v166, v40, 0x3f116cb1, v83
	v_fmac_f32_e32 v63, 0x3f116cb1, v34
	v_fma_f32 v149, 0xbeb58ec6, v34, -v65
	v_fmac_f32_e32 v65, 0xbeb58ec6, v34
	v_fma_f32 v151, 0xbf788fa5, v34, -v68
	;; [unrolled: 2-line block ×5, first 2 shown]
	v_dual_fmac_f32 v125, 0x3df6dbef, v47 :: v_dual_add_f32 v140, v9, v140
	v_fma_f32 v180, 0xbf788fa5, v47, -v127
	v_dual_fmac_f32 v127, 0xbf788fa5, v47 :: v_dual_add_f32 v56, v9, v56
	v_dual_fmamk_f32 v183, v48, 0x3df6dbef, v130 :: v_dual_add_f32 v142, v9, v142
	v_add_f32_e32 v139, v8, v139
	v_fma_f32 v155, 0x3df6dbef, v34, -v72
	v_fmac_f32_e32 v72, 0x3df6dbef, v34
	v_fma_f32 v34, 0x3f62ad3f, v35, -v37
	v_add_f32_e32 v58, v9, v58
	v_add_f32_e32 v144, v9, v144
	;; [unrolled: 1-line block ×8, first 2 shown]
	v_dual_mul_f32 v112, 0x3f29c268, v46 :: v_dual_add_f32 v57, v8, v57
	v_dual_mul_f32 v116, 0xbf6f5d39, v45 :: v_dual_add_f32 v59, v8, v59
	;; [unrolled: 1-line block ×5, first 2 shown]
	v_fma_f32 v64, 0x3f116cb1, v35, -v64
	v_fmamk_f32 v150, v35, 0xbeb58ec6, v67
	v_fma_f32 v67, 0xbeb58ec6, v35, -v67
	v_dual_fmamk_f32 v152, v35, 0xbf788fa5, v69 :: v_dual_fmamk_f32 v185, v48, 0xbf788fa5, v132
	v_fma_f32 v69, 0xbf788fa5, v35, -v69
	v_dual_fmamk_f32 v156, v35, 0x3df6dbef, v73 :: v_dual_fmamk_f32 v175, v44, 0x3df6dbef, v122
	v_fma_f32 v73, 0x3df6dbef, v35, -v73
	v_fmamk_f32 v158, v35, 0x3f62ad3f, v37
	v_fma_f32 v161, 0xbeb58ec6, v39, -v78
	v_fmac_f32_e32 v78, 0xbeb58ec6, v39
	v_fma_f32 v163, 0x3f62ad3f, v39, -v80
	v_fma_f32 v165, 0x3f116cb1, v39, -v82
	v_fmac_f32_e32 v82, 0x3f116cb1, v39
	v_fma_f32 v167, 0xbf3f9e67, v39, -v42
	v_fmac_f32_e32 v42, 0xbf3f9e67, v39
	v_fma_f32 v170, 0x3df6dbef, v43, -v114
	v_dual_fmac_f32 v114, 0x3df6dbef, v43 :: v_dual_add_f32 v9, v34, v9
	v_fma_f32 v171, 0xbf788fa5, v43, -v115
	v_fmac_f32_e32 v115, 0xbf788fa5, v43
	v_add_f32_e32 v55, v8, v55
	v_add_f32_e32 v141, v8, v141
	v_fma_f32 v159, 0xbf788fa5, v39, -v76
	v_fmac_f32_e32 v76, 0xbf788fa5, v39
	v_dual_add_f32 v147, v8, v147 :: v_dual_fmamk_f32 v154, v35, 0xbf3f9e67, v71
	v_fmamk_f32 v173, v44, 0xbf3f9e67, v120
	v_fma_f32 v71, 0xbf3f9e67, v35, -v71
	v_fma_f32 v35, 0x3df6dbef, v39, -v74
	v_fmac_f32_e32 v74, 0x3df6dbef, v39
	v_fmac_f32_e32 v80, 0x3f62ad3f, v39
	v_fma_f32 v39, 0xbf3f9e67, v40, -v41
	v_mul_f32_e32 v134, 0xbe750f2a, v52
	v_fmamk_f32 v37, v40, 0x3df6dbef, v75
	v_fma_f32 v75, 0x3df6dbef, v40, -v75
	v_dual_fmamk_f32 v160, v40, 0xbf788fa5, v77 :: v_dual_add_f32 v17, v149, v139
	v_fma_f32 v77, 0xbf788fa5, v40, -v77
	v_fmamk_f32 v162, v40, 0xbeb58ec6, v79
	v_fma_f32 v79, 0xbeb58ec6, v40, -v79
	v_fmamk_f32 v164, v40, 0x3f62ad3f, v81
	v_fma_f32 v81, 0x3f62ad3f, v40, -v81
	v_fma_f32 v83, 0x3f116cb1, v40, -v83
	;; [unrolled: 1-line block ×3, first 2 shown]
	v_add_f32_e32 v18, v8, v18
	v_add_f32_e32 v8, v8, v11
	;; [unrolled: 1-line block ×3, first 2 shown]
	v_dual_add_f32 v9, v39, v9 :: v_dual_fmamk_f32 v168, v40, 0xbf3f9e67, v41
	v_fma_f32 v40, 0xbeb58ec6, v43, -v111
	v_fmac_f32_e32 v111, 0xbeb58ec6, v43
	v_dual_mul_f32 v46, 0x3f52af12, v46 :: v_dual_mul_f32 v45, 0x3f52af12, v45
	v_dual_mul_f32 v138, 0xbf29c268, v52 :: v_dual_add_f32 v13, v33, v19
	v_add_f32_e32 v15, v64, v25
	v_add_f32_e32 v19, v65, v55
	;; [unrolled: 1-line block ×4, first 2 shown]
	v_fma_f32 v41, 0xbf3f9e67, v43, -v112
	v_dual_fmac_f32 v112, 0xbf3f9e67, v43 :: v_dual_add_f32 v61, v72, v61
	v_fmac_f32_e32 v113, 0x3f62ad3f, v43
	v_fma_f32 v172, 0x3f116cb1, v43, -v46
	v_dual_fmac_f32 v46, 0x3f116cb1, v43 :: v_dual_fmamk_f32 v177, v44, 0x3f116cb1, v45
	v_fmamk_f32 v43, v44, 0xbeb58ec6, v116
	v_fma_f32 v116, 0xbeb58ec6, v44, -v116
	v_fma_f32 v120, 0xbf3f9e67, v44, -v120
	v_dual_fmamk_f32 v174, v44, 0x3f62ad3f, v121 :: v_dual_add_f32 v13, v37, v13
	v_fma_f32 v121, 0x3f62ad3f, v44, -v121
	v_fma_f32 v122, 0x3df6dbef, v44, -v122
	v_dual_fmamk_f32 v176, v44, 0xbf788fa5, v123 :: v_dual_add_f32 v15, v75, v15
	v_fma_f32 v123, 0xbf788fa5, v44, -v123
	v_fma_f32 v44, 0x3f116cb1, v44, -v45
	;; [unrolled: 1-line block ×3, first 2 shown]
	v_dual_fmac_f32 v124, 0xbf3f9e67, v47 :: v_dual_add_f32 v17, v159, v17
	v_fma_f32 v179, 0x3f116cb1, v47, -v126
	v_dual_fmac_f32 v126, 0x3f116cb1, v47 :: v_dual_add_f32 v25, v161, v25
	v_fma_f32 v181, 0x3f62ad3f, v47, -v128
	v_fma_f32 v182, 0xbeb58ec6, v47, -v50
	v_dual_fmac_f32 v50, 0xbeb58ec6, v47 :: v_dual_fmamk_f32 v187, v48, 0xbeb58ec6, v49
	v_dual_add_f32 v33, v68, v57 :: v_dual_fmac_f32 v128, 0x3f62ad3f, v47
	v_fmamk_f32 v47, v48, 0xbf3f9e67, v129
	v_dual_fmamk_f32 v188, v54, 0xbf788fa5, v135 :: v_dual_add_f32 v19, v76, v19
	v_add_f32_e32 v55, v69, v58
	v_add_f32_e32 v11, v11, v31
	;; [unrolled: 1-line block ×3, first 2 shown]
	v_fma_f32 v129, 0xbf3f9e67, v48, -v129
	v_fma_f32 v130, 0x3df6dbef, v48, -v130
	;; [unrolled: 1-line block ×3, first 2 shown]
	v_add_f32_e32 v5, v11, v5
	v_add_f32_e32 v57, v154, v144
	v_dual_add_f32 v59, v71, v60 :: v_dual_fmamk_f32 v186, v48, 0x3f62ad3f, v133
	v_fma_f32 v133, 0x3f62ad3f, v48, -v133
	v_add_f32_e32 v33, v78, v33
	v_add_f32_e32 v13, v43, v13
	v_dual_add_f32 v15, v116, v15 :: v_dual_add_f32 v60, v155, v145
	v_dual_add_f32 v17, v41, v17 :: v_dual_add_f32 v10, v12, v14
	s_delay_alu instid0(VALU_DEP_4)
	v_dual_add_f32 v29, v113, v33 :: v_dual_add_f32 v12, v32, v18
	v_dual_add_f32 v14, v63, v24 :: v_dual_add_f32 v19, v112, v19
	;; [unrolled: 1-line block ×3, first 2 shown]
	v_add_f32_e32 v38, v80, v58
	v_add_f32_e32 v24, v67, v56
	v_dual_add_f32 v56, v153, v143 :: v_dual_add_f32 v9, v44, v9
	v_fmamk_f32 v184, v48, 0x3f116cb1, v131
	v_fma_f32 v131, 0x3f116cb1, v48, -v131
	v_fma_f32 v48, 0xbeb58ec6, v48, -v49
	v_add_f32_e32 v51, v30, v28
	v_dual_add_f32 v63, v156, v146 :: v_dual_add_f32 v64, v157, v147
	v_add_f32_e32 v11, v47, v13
	v_dual_add_f32 v12, v35, v12 :: v_dual_add_f32 v29, v126, v29
	v_add_f32_e32 v35, v163, v56
	v_add_f32_e32 v13, v129, v15
	v_dual_add_f32 v56, v165, v60 :: v_dual_add_f32 v43, v48, v9
	v_add_f32_e32 v32, v152, v142
	v_dual_mul_f32 v136, 0x3eedf032, v52 :: v_dual_mul_f32 v137, 0x3eedf032, v53
	v_fma_f32 v49, 0xbf788fa5, v51, -v134
	v_dual_fmac_f32 v134, 0xbf788fa5, v51 :: v_dual_add_f32 v37, v164, v57
	v_dual_add_f32 v62, v73, v62 :: v_dual_add_f32 v57, v166, v63
	v_add_f32_e32 v31, v170, v35
	v_add_f32_e32 v35, v171, v56
	;; [unrolled: 1-line block ×3, first 2 shown]
	v_fmamk_f32 v190, v54, 0x3f62ad3f, v137
	v_add_f32_e32 v18, v150, v140
	s_delay_alu instid0(VALU_DEP_4) | instskip(NEXT) | instid1(VALU_DEP_4)
	v_dual_add_f32 v10, v10, v28 :: v_dual_add_f32 v35, v181, v35
	v_add_f32_e32 v28, v174, v32
	v_add_f32_e32 v32, v175, v37
	v_dual_add_f32 v37, v176, v57 :: v_dual_add_f32 v34, v79, v55
	v_add_f32_e32 v55, v81, v59
	v_dual_add_f32 v59, v83, v62 :: v_dual_add_f32 v58, v82, v61
	v_add_f32_e32 v5, v5, v7
	v_dual_mul_f32 v9, 0xbf29c268, v53 :: v_dual_add_f32 v60, v167, v64
	s_delay_alu instid0(VALU_DEP_3) | instskip(SKIP_1) | instid1(VALU_DEP_4)
	v_add_f32_e32 v39, v123, v59
	v_add_f32_e32 v37, v186, v37
	;; [unrolled: 1-line block ×3, first 2 shown]
	v_dual_add_f32 v1, v188, v11 :: v_dual_add_f32 v14, v74, v14
	s_delay_alu instid0(VALU_DEP_4) | instskip(SKIP_1) | instid1(VALU_DEP_4)
	v_add_f32_e32 v39, v133, v39
	v_add_f32_e32 v33, v114, v38
	v_dual_add_f32 v18, v160, v18 :: v_dual_add_f32 v3, v5, v3
	v_add_f32_e32 v12, v40, v12
	v_fma_f32 v135, 0xbf788fa5, v54, -v135
	s_delay_alu instid0(VALU_DEP_3) | instskip(NEXT) | instid1(VALU_DEP_4)
	v_dual_add_f32 v33, v127, v33 :: v_dual_add_f32 v18, v173, v18
	v_dual_add_f32 v16, v158, v16 :: v_dual_add_f32 v5, v3, v21
	;; [unrolled: 1-line block ×3, first 2 shown]
	s_delay_alu instid0(VALU_DEP_2) | instskip(SKIP_2) | instid1(VALU_DEP_3)
	v_dual_add_f32 v15, v183, v18 :: v_dual_add_f32 v16, v168, v16
	v_add_f32_e32 v14, v111, v14
	v_fma_f32 v7, 0x3f62ad3f, v54, -v137
	v_dual_add_f32 v24, v120, v24 :: v_dual_add_f32 v3, v190, v15
	s_delay_alu instid0(VALU_DEP_4)
	v_add_f32_e32 v16, v177, v16
	v_add_f32_e32 v10, v10, v30
	v_fma_f32 v11, 0xbf3f9e67, v54, -v9
	v_fma_f32 v189, 0x3f62ad3f, v51, -v136
	v_add_f32_e32 v18, v130, v24
	v_add_f32_e32 v41, v187, v16
	;; [unrolled: 1-line block ×5, first 2 shown]
	v_dual_add_f32 v14, v178, v17 :: v_dual_add_f32 v17, v125, v19
	s_delay_alu instid0(VALU_DEP_4) | instskip(SKIP_3) | instid1(VALU_DEP_4)
	v_add_f32_e32 v4, v4, v6
	v_dual_add_f32 v8, v42, v8 :: v_dual_add_f32 v19, v179, v25
	v_add_f32_e32 v25, v135, v13
	v_dual_mul_f32 v13, 0x3f52af12, v53 :: v_dual_add_f32 v28, v184, v28
	v_add_f32_e32 v4, v4, v0
	v_add_f32_e32 v0, v49, v10
	v_fmamk_f32 v10, v54, 0xbf3f9e67, v9
	v_add_f32_e32 v30, v121, v34
	v_fmac_f32_e32 v136, 0x3f62ad3f, v51
	v_dual_fmamk_f32 v15, v54, 0x3f116cb1, v13 :: v_dual_add_f32 v32, v185, v32
	s_delay_alu instid0(VALU_DEP_3)
	v_dual_add_f32 v9, v10, v28 :: v_dual_add_f32 v30, v131, v30
	v_add_f32_e32 v34, v122, v55
	v_fma_f32 v16, 0x3f116cb1, v54, -v13
	v_add_f32_e32 v38, v115, v58
	v_add_f32_e32 v4, v4, v2
	;; [unrolled: 1-line block ×5, first 2 shown]
	v_dual_add_f32 v6, v136, v17 :: v_dual_add_f32 v7, v7, v18
	v_dual_mul_f32 v18, 0xbf6f5d39, v52 :: v_dual_mul_f32 v17, 0xbf6f5d39, v53
	v_add_f32_e32 v13, v15, v32
	s_delay_alu instid0(VALU_DEP_4)
	v_dual_add_f32 v15, v16, v34 :: v_dual_add_f32 v42, v50, v8
	v_fma_f32 v8, 0xbf3f9e67, v51, -v138
	v_add_f32_e32 v2, v189, v14
	v_add_f32_e32 v4, v4, v20
	v_mul_f32_e32 v14, 0x3f52af12, v52
	v_fmamk_f32 v20, v54, 0xbeb58ec6, v17
	v_add_f32_e32 v8, v8, v19
	v_fma_f32 v19, 0xbeb58ec6, v51, -v18
	v_mul_lo_u16 v21, v22, 13
	v_add_f32_e32 v24, v134, v12
	v_fmac_f32_e32 v138, 0xbf3f9e67, v51
	v_fma_f32 v12, 0x3f116cb1, v51, -v14
	v_add_f32_e32 v16, v19, v35
	v_fma_f32 v19, 0xbeb58ec6, v54, -v17
	v_add_f32_e32 v40, v172, v60
	v_dual_add_f32 v17, v20, v37 :: v_dual_mul_f32 v28, 0x3f7e222b, v52
	s_delay_alu instid0(VALU_DEP_3) | instskip(SKIP_1) | instid1(VALU_DEP_4)
	v_dual_mul_f32 v20, 0x3f7e222b, v53 :: v_dual_add_f32 v19, v19, v39
	v_and_b32_e32 v32, 0xffff, v21
	v_add_f32_e32 v40, v182, v40
	v_add_f32_e32 v10, v138, v29
	;; [unrolled: 1-line block ×3, first 2 shown]
	v_fma_f32 v29, 0x3df6dbef, v51, -v28
	v_fmamk_f32 v30, v54, 0x3df6dbef, v20
	v_fmac_f32_e32 v28, 0x3df6dbef, v51
	v_fma_f32 v31, 0x3df6dbef, v54, -v20
	v_add_f32_e32 v38, v128, v38
	v_fmac_f32_e32 v14, 0x3f116cb1, v51
	v_fmac_f32_e32 v18, 0xbeb58ec6, v51
	v_lshl_add_u32 v72, v32, 3, v119
	v_dual_add_f32 v20, v29, v40 :: v_dual_add_f32 v21, v30, v41
	v_dual_add_f32 v28, v28, v42 :: v_dual_add_f32 v29, v31, v43
	v_add_f32_e32 v14, v14, v33
	v_add_f32_e32 v18, v18, v38
	ds_store_2addr_b64 v72, v[4:5], v[0:1] offset1:1
	ds_store_2addr_b64 v72, v[2:3], v[8:9] offset0:2 offset1:3
	ds_store_2addr_b64 v72, v[12:13], v[16:17] offset0:4 offset1:5
	;; [unrolled: 1-line block ×5, first 2 shown]
	ds_store_b64 v72, v[24:25] offset:96
	global_wb scope:SCOPE_SE
	s_wait_dscnt 0x0
	s_barrier_signal -1
	s_barrier_wait -1
	global_inv scope:SCOPE_SE
	ds_load_2addr_b64 v[28:31], v118 offset1:78
	ds_load_2addr_b64 v[32:35], v118 offset0:169 offset1:247
	ds_load_2addr_b64 v[36:39], v36 offset0:82 offset1:160
	;; [unrolled: 1-line block ×5, first 2 shown]
	v_add_co_u32 v64, s2, s8, v66
	s_wait_alu 0xf1ff
	v_add_co_ci_u32_e64 v65, null, s9, 0, s2
                                        ; implicit-def: $vgpr52
                                        ; implicit-def: $vgpr56
	s_and_saveexec_b32 s2, vcc_lo
	s_cbranch_execz .LBB0_3
; %bb.2:
	v_add_nc_u32_e32 v0, 0x400, v118
	v_add_nc_u32_e32 v1, 0xe00, v118
	ds_load_2addr_b64 v[24:27], v0 offset0:28 offset1:197
	ds_load_2addr_b64 v[52:55], v1 offset0:46 offset1:215
	;; [unrolled: 1-line block ×3, first 2 shown]
.LBB0_3:
	s_wait_alu 0xfffe
	s_or_b32 exec_lo, exec_lo, s2
	v_and_b32_e32 v0, 0xff, v117
	v_add_nc_u16 v2, v117, 0x4e
	v_add_nc_u16 v3, v117, 0x9c
	s_delay_alu instid0(VALU_DEP_3) | instskip(NEXT) | instid1(VALU_DEP_3)
	v_mul_lo_u16 v0, 0x4f, v0
	v_and_b32_e32 v1, 0xff, v2
	s_delay_alu instid0(VALU_DEP_2) | instskip(NEXT) | instid1(VALU_DEP_2)
	v_lshrrev_b16 v62, 10, v0
	v_mul_lo_u16 v1, 0x4f, v1
	s_delay_alu instid0(VALU_DEP_2) | instskip(NEXT) | instid1(VALU_DEP_2)
	v_mul_lo_u16 v0, v62, 13
	v_lshrrev_b16 v67, 10, v1
	s_delay_alu instid0(VALU_DEP_2) | instskip(NEXT) | instid1(VALU_DEP_2)
	v_sub_nc_u16 v0, v117, v0
	v_mul_lo_u16 v5, v67, 13
	s_delay_alu instid0(VALU_DEP_2) | instskip(NEXT) | instid1(VALU_DEP_2)
	v_and_b32_e32 v63, 0xff, v0
	v_sub_nc_u16 v2, v2, v5
	s_delay_alu instid0(VALU_DEP_2)
	v_mad_co_u64_u32 v[0:1], null, v63, 40, s[10:11]
	s_clause 0x1
	global_load_b128 v[20:23], v[0:1], off
	global_load_b128 v[16:19], v[0:1], off offset:16
	v_and_b32_e32 v4, 0xff, v3
	global_load_b64 v[115:116], v[0:1], off offset:32
	v_and_b32_e32 v68, 0xff, v2
	v_mul_lo_u16 v4, 0x4f, v4
	s_delay_alu instid0(VALU_DEP_2) | instskip(NEXT) | instid1(VALU_DEP_2)
	v_mad_co_u64_u32 v[0:1], null, v68, 40, s[10:11]
	v_lshrrev_b16 v4, 10, v4
	global_load_b128 v[12:15], v[0:1], off
	v_mul_lo_u16 v4, v4, 13
	s_delay_alu instid0(VALU_DEP_1) | instskip(SKIP_1) | instid1(VALU_DEP_1)
	v_sub_nc_u16 v2, v3, v4
	s_wait_loadcnt_dscnt 0x201
	v_dual_mul_f32 v69, v45, v19 :: v_dual_and_b32 v120, 0xff, v2
	s_delay_alu instid0(VALU_DEP_1)
	v_mad_co_u64_u32 v[60:61], null, v120, 40, s[10:11]
	s_clause 0x4
	global_load_b128 v[8:11], v[0:1], off offset:16
	global_load_b64 v[113:114], v[0:1], off offset:32
	global_load_b128 v[4:7], v[60:61], off
	global_load_b128 v[0:3], v[60:61], off offset:16
	global_load_b64 v[111:112], v[60:61], off offset:32
	v_and_b32_e32 v61, 0xffff, v67
	s_wait_loadcnt_dscnt 0x600
	v_dual_mul_f32 v71, v49, v116 :: v_dual_and_b32 v60, 0xffff, v62
	v_mul_f32_e32 v67, v41, v17
	v_mul_f32_e32 v62, v37, v23
	v_mul_u32_u24_e32 v61, 0x4e, v61
	s_delay_alu instid0(VALU_DEP_4)
	v_mul_u32_u24_e32 v60, 0x4e, v60
	v_mul_f32_e32 v70, v44, v19
	v_mul_f32_e32 v73, v48, v116
	global_wb scope:SCOPE_SE
	s_wait_loadcnt 0x0
	v_dual_mul_f32 v68, v40, v17 :: v_dual_add_nc_u32 v61, v61, v68
	v_fmac_f32_e32 v70, v45, v18
	v_fmac_f32_e32 v73, v49, v115
	s_barrier_signal -1
	s_delay_alu instid0(VALU_DEP_3) | instskip(SKIP_4) | instid1(VALU_DEP_4)
	v_lshl_add_u32 v121, v61, 3, v119
	v_mul_f32_e32 v61, v32, v21
	v_add_nc_u32_e32 v60, v60, v63
	v_dual_mul_f32 v63, v36, v23 :: v_dual_fmac_f32 v68, v41, v16
	v_mul_f32_e32 v41, v39, v15
	v_fmac_f32_e32 v61, v33, v20
	s_delay_alu instid0(VALU_DEP_4)
	v_lshl_add_u32 v122, v60, 3, v119
	v_mul_f32_e32 v60, v33, v21
	v_fmac_f32_e32 v63, v37, v22
	v_fma_f32 v33, v40, v16, -v67
	v_mul_f32_e32 v40, v35, v13
	v_fma_f32 v37, v48, v115, -v71
	v_fma_f32 v60, v32, v20, -v60
	;; [unrolled: 1-line block ×4, first 2 shown]
	v_mul_f32_e32 v48, v34, v13
	v_mul_f32_e32 v44, v38, v15
	v_fma_f32 v123, v34, v12, -v40
	v_fma_f32 v34, v38, v14, -v41
	s_barrier_wait -1
	global_inv scope:SCOPE_SE
	v_fmac_f32_e32 v48, v35, v12
	v_mul_f32_e32 v45, v43, v9
	v_dual_mul_f32 v49, v42, v9 :: v_dual_mul_f32 v62, v47, v11
	v_dual_mul_f32 v67, v46, v11 :: v_dual_mul_f32 v74, v27, v5
	;; [unrolled: 1-line block ×6, first 2 shown]
	v_mul_f32_e32 v79, v54, v1
	v_dual_mul_f32 v81, v56, v3 :: v_dual_fmac_f32 v44, v39, v14
	v_mul_f32_e32 v83, v58, v112
	v_fma_f32 v35, v42, v8, -v45
	v_fmac_f32_e32 v49, v43, v8
	v_fma_f32 v38, v46, v10, -v62
	v_dual_fmac_f32 v67, v47, v10 :: v_dual_add_f32 v42, v28, v32
	v_fma_f32 v39, v50, v113, -v69
	v_fma_f32 v50, v26, v4, -v74
	;; [unrolled: 1-line block ×3, first 2 shown]
	v_dual_add_f32 v43, v32, v36 :: v_dual_add_f32 v46, v29, v63
	v_add_f32_e32 v52, v33, v37
	v_dual_fmac_f32 v71, v51, v113 :: v_dual_sub_f32 v32, v32, v36
	v_fmac_f32_e32 v75, v27, v4
	v_dual_fmac_f32 v77, v53, v6 :: v_dual_add_f32 v36, v42, v36
	v_fma_f32 v27, v54, v0, -v78
	v_dual_fmac_f32 v79, v55, v0 :: v_dual_add_f32 v42, v30, v34
	v_fma_f32 v40, v56, v2, -v80
	v_fmac_f32_e32 v81, v57, v2
	v_fma_f32 v41, v58, v111, -v82
	v_dual_fmac_f32 v83, v59, v111 :: v_dual_add_f32 v54, v61, v68
	v_sub_f32_e32 v45, v63, v70
	v_add_f32_e32 v47, v63, v70
	v_dual_add_f32 v51, v60, v33 :: v_dual_fmac_f32 v60, -0.5, v52
	v_sub_f32_e32 v52, v34, v38
	v_fma_f32 v56, -0.5, v43, v28
	v_dual_add_f32 v28, v46, v70 :: v_dual_add_f32 v55, v68, v73
	v_dual_add_f32 v78, v75, v79 :: v_dual_sub_f32 v53, v68, v73
	v_dual_add_f32 v74, v50, v27 :: v_dual_sub_f32 v33, v33, v37
	v_add_f32_e32 v62, v24, v26
	v_fma_f32 v47, -0.5, v47, v29
	v_dual_fmac_f32 v61, -0.5, v55 :: v_dual_add_f32 v58, v48, v49
	v_dual_add_f32 v43, v34, v38 :: v_dual_sub_f32 v68, v77, v81
	v_dual_sub_f32 v46, v44, v67 :: v_dual_add_f32 v29, v51, v37
	v_dual_fmamk_f32 v82, v45, 0x3f5db3d7, v56 :: v_dual_add_f32 v37, v54, v73
	v_dual_fmamk_f32 v124, v53, 0x3f5db3d7, v60 :: v_dual_add_f32 v51, v31, v44
	v_add_f32_e32 v70, v77, v81
	v_add_f32_e32 v44, v44, v67
	v_dual_add_f32 v55, v35, v39 :: v_dual_fmac_f32 v56, 0xbf5db3d7, v45
	v_dual_sub_f32 v57, v49, v71 :: v_dual_add_f32 v76, v27, v41
	v_dual_add_f32 v49, v49, v71 :: v_dual_sub_f32 v80, v27, v41
	v_dual_add_f32 v63, v26, v40 :: v_dual_add_f32 v54, v123, v35
	v_dual_sub_f32 v59, v35, v39 :: v_dual_fmac_f32 v60, 0xbf5db3d7, v53
	v_dual_add_f32 v69, v25, v77 :: v_dual_add_f32 v38, v42, v38
	s_delay_alu instid0(VALU_DEP_4)
	v_dual_sub_f32 v77, v79, v83 :: v_dual_fmac_f32 v48, -0.5, v49
	v_add_f32_e32 v79, v79, v83
	v_dual_fmamk_f32 v45, v32, 0xbf5db3d7, v47 :: v_dual_add_f32 v42, v51, v67
	v_fmac_f32_e32 v47, 0x3f5db3d7, v32
	v_fmamk_f32 v53, v33, 0xbf5db3d7, v61
	v_dual_fmac_f32 v61, 0x3f5db3d7, v33 :: v_dual_fmac_f32 v50, -0.5, v76
	v_add_f32_e32 v32, v36, v29
	v_fma_f32 v30, -0.5, v43, v30
	v_add_f32_e32 v33, v28, v37
	v_dual_sub_f32 v35, v28, v37 :: v_dual_fmac_f32 v24, -0.5, v63
	v_dual_fmac_f32 v123, -0.5, v55 :: v_dual_add_f32 v28, v74, v41
	v_dual_fmac_f32 v31, -0.5, v44 :: v_dual_mul_f32 v44, 0x3f5db3d7, v53
	v_dual_sub_f32 v73, v26, v40 :: v_dual_sub_f32 v34, v36, v29
	v_add_f32_e32 v39, v54, v39
	v_add_f32_e32 v43, v58, v71
	v_dual_add_f32 v26, v62, v40 :: v_dual_add_f32 v27, v69, v81
	v_add_f32_e32 v29, v78, v83
	v_dual_fmac_f32 v75, -0.5, v79 :: v_dual_mul_f32 v58, -0.5, v61
	v_mul_f32_e32 v49, -0.5, v60
	s_delay_alu instid0(VALU_DEP_4)
	v_dual_fmamk_f32 v63, v52, 0xbf5db3d7, v31 :: v_dual_sub_f32 v54, v26, v28
	v_fmac_f32_e32 v31, 0x3f5db3d7, v52
	v_fmamk_f32 v52, v57, 0x3f5db3d7, v123
	v_dual_fmac_f32 v123, 0xbf5db3d7, v57 :: v_dual_fmac_f32 v44, 0.5, v124
	v_fmamk_f32 v57, v59, 0xbf5db3d7, v48
	v_fmac_f32_e32 v48, 0x3f5db3d7, v59
	v_fmamk_f32 v59, v68, 0x3f5db3d7, v24
	v_fmac_f32_e32 v24, 0xbf5db3d7, v68
	v_fmamk_f32 v68, v77, 0x3f5db3d7, v50
	v_dual_fmac_f32 v50, 0xbf5db3d7, v77 :: v_dual_fmac_f32 v25, -0.5, v70
	v_dual_add_f32 v36, v38, v39 :: v_dual_mul_f32 v51, 0xbf5db3d7, v124
	v_mul_f32_e32 v70, -0.5, v123
	v_dual_sub_f32 v38, v38, v39 :: v_dual_fmamk_f32 v69, v80, 0xbf5db3d7, v75
	s_delay_alu instid0(VALU_DEP_4) | instskip(SKIP_3) | instid1(VALU_DEP_4)
	v_dual_mul_f32 v76, -0.5, v50 :: v_dual_fmac_f32 v49, 0x3f5db3d7, v61
	v_dual_fmac_f32 v75, 0x3f5db3d7, v80 :: v_dual_fmamk_f32 v62, v46, 0x3f5db3d7, v30
	v_dual_fmac_f32 v30, 0xbf5db3d7, v46 :: v_dual_sub_f32 v55, v27, v29
	v_fmac_f32_e32 v70, 0x3f5db3d7, v48
	v_sub_f32_e32 v46, v56, v49
	s_delay_alu instid0(VALU_DEP_4) | instskip(SKIP_4) | instid1(VALU_DEP_4)
	v_dual_mul_f32 v78, -0.5, v75 :: v_dual_fmac_f32 v51, 0.5, v53
	v_mul_f32_e32 v53, 0x3f5db3d7, v57
	v_mul_f32_e32 v74, 0x3f5db3d7, v69
	;; [unrolled: 1-line block ×3, first 2 shown]
	v_dual_add_f32 v37, v42, v43 :: v_dual_fmac_f32 v58, 0xbf5db3d7, v60
	v_dual_add_f32 v60, v30, v70 :: v_dual_fmac_f32 v53, 0.5, v52
	v_mul_f32_e32 v71, 0xbf5db3d7, v52
	v_dual_fmamk_f32 v67, v73, 0xbf5db3d7, v25 :: v_dual_add_f32 v40, v82, v44
	v_dual_fmac_f32 v25, 0x3f5db3d7, v73 :: v_dual_sub_f32 v44, v82, v44
	v_mul_f32_e32 v73, -0.5, v48
	v_fmac_f32_e32 v74, 0.5, v68
	v_fmac_f32_e32 v76, 0x3f5db3d7, v75
	v_fmac_f32_e32 v78, 0xbf5db3d7, v50
	v_dual_sub_f32 v30, v30, v70 :: v_dual_fmac_f32 v77, 0.5, v69
	v_add_f32_e32 v48, v62, v53
	v_sub_f32_e32 v62, v62, v53
	v_fmac_f32_e32 v71, 0.5, v57
	v_fmac_f32_e32 v73, 0xbf5db3d7, v123
	v_dual_sub_f32 v39, v42, v43 :: v_dual_add_f32 v42, v56, v49
	v_dual_add_f32 v41, v45, v51 :: v_dual_add_f32 v50, v59, v74
	v_dual_add_f32 v43, v47, v58 :: v_dual_add_f32 v52, v24, v76
	v_dual_sub_f32 v45, v45, v51 :: v_dual_sub_f32 v56, v59, v74
	v_dual_sub_f32 v47, v47, v58 :: v_dual_sub_f32 v58, v24, v76
	v_add_f32_e32 v51, v67, v77
	v_add_f32_e32 v53, v25, v78
	v_sub_f32_e32 v57, v67, v77
	v_sub_f32_e32 v59, v25, v78
	v_add_f32_e32 v49, v63, v71
	v_add_f32_e32 v61, v31, v73
	v_sub_f32_e32 v63, v63, v71
	v_sub_f32_e32 v31, v31, v73
	ds_store_2addr_b64 v122, v[32:33], v[40:41] offset1:13
	ds_store_2addr_b64 v122, v[42:43], v[34:35] offset0:26 offset1:39
	ds_store_2addr_b64 v122, v[44:45], v[46:47] offset0:52 offset1:65
	ds_store_2addr_b64 v121, v[36:37], v[48:49] offset1:13
	ds_store_2addr_b64 v121, v[60:61], v[38:39] offset0:26 offset1:39
	ds_store_2addr_b64 v121, v[62:63], v[30:31] offset0:52 offset1:65
	s_and_saveexec_b32 s2, vcc_lo
	s_cbranch_execz .LBB0_5
; %bb.4:
	v_lshl_add_u32 v30, v120, 3, v119
	v_dual_add_f32 v25, v27, v29 :: v_dual_add_f32 v24, v26, v28
	s_delay_alu instid0(VALU_DEP_2)
	v_add_nc_u32_e32 v26, 0x1800, v30
	ds_store_2addr_b64 v26, v[24:25], v[50:51] offset0:168 offset1:181
	ds_store_2addr_b64 v26, v[52:53], v[54:55] offset0:194 offset1:207
	;; [unrolled: 1-line block ×3, first 2 shown]
.LBB0_5:
	s_wait_alu 0xfffe
	s_or_b32 exec_lo, exec_lo, s2
	v_mad_co_u64_u32 v[28:29], null, 0x60, v117, s[10:11]
	global_wb scope:SCOPE_SE
	s_wait_dscnt 0x0
	s_barrier_signal -1
	s_barrier_wait -1
	global_inv scope:SCOPE_SE
	s_add_nc_u64 s[2:3], s[8:9], 0x1fb0
	s_clause 0x5
	global_load_b128 v[44:47], v[28:29], off offset:520
	global_load_b128 v[40:43], v[28:29], off offset:536
	;; [unrolled: 1-line block ×6, first 2 shown]
	ds_load_2addr_b64 v[60:63], v118 offset1:78
	ds_load_2addr_b64 v[75:78], v118 offset0:156 offset1:234
	v_add_nc_u32_e32 v74, 0x800, v118
	v_add_nc_u32_e32 v73, 0xc00, v118
	;; [unrolled: 1-line block ×3, first 2 shown]
	s_wait_loadcnt_dscnt 0x500
	v_dual_mul_f32 v144, v75, v47 :: v_dual_add_nc_u32 v123, 0x1800, v118
	v_mul_f32_e32 v79, v63, v45
	ds_load_2addr_b64 v[125:128], v74 offset0:56 offset1:134
	v_mul_f32_e32 v143, v62, v45
	ds_load_2addr_b64 v[133:136], v124 offset0:112 offset1:190
	;; [unrolled: 2-line block ×3, first 2 shown]
	ds_load_2addr_b64 v[137:140], v123 offset0:12 offset1:90
	ds_load_b64 v[141:142], v118 offset:7488
	s_wait_loadcnt 0x4
	v_mul_f32_e32 v83, v78, v41
	v_mul_f32_e32 v145, v77, v41
	v_fma_f32 v155, v62, v44, -v79
	v_fma_f32 v156, v75, v46, -v82
	v_fmac_f32_e32 v144, v76, v46
	s_wait_dscnt 0x4
	v_mul_f32_e32 v146, v126, v43
	s_wait_loadcnt 0x3
	v_dual_mul_f32 v81, v125, v43 :: v_dual_mul_f32 v80, v127, v33
	s_wait_loadcnt_dscnt 0x103
	v_mul_f32_e32 v67, v135, v37
	s_wait_loadcnt_dscnt 0x0
	v_dual_mul_f32 v153, v140, v29 :: v_dual_mul_f32 v70, v141, v31
	v_dual_mul_f32 v147, v128, v33 :: v_dual_mul_f32 v148, v130, v35
	;; [unrolled: 1-line block ×4, first 2 shown]
	v_mul_f32_e32 v152, v138, v39
	v_mul_f32_e32 v71, v133, v27
	v_dual_mul_f32 v151, v136, v37 :: v_dual_mul_f32 v68, v137, v39
	v_dual_mul_f32 v69, v139, v29 :: v_dual_fmac_f32 v80, v128, v32
	v_dual_mul_f32 v154, v142, v31 :: v_dual_fmac_f32 v143, v63, v44
	v_dual_fmac_f32 v48, v130, v34 :: v_dual_fmac_f32 v67, v136, v36
	v_fmac_f32_e32 v70, v142, v30
	v_fma_f32 v157, v77, v40, -v83
	v_fmac_f32_e32 v145, v78, v40
	v_fma_f32 v83, v125, v42, -v146
	v_fma_f32 v82, v127, v32, -v147
	;; [unrolled: 1-line block ×6, first 2 shown]
	v_dual_fmac_f32 v69, v140, v28 :: v_dual_add_f32 v128, v143, v70
	v_fmac_f32_e32 v81, v126, v42
	v_fmac_f32_e32 v71, v134, v26
	v_dual_add_f32 v125, v60, v155 :: v_dual_sub_f32 v130, v143, v70
	v_add_f32_e32 v126, v61, v143
	v_fma_f32 v62, v129, v34, -v148
	v_dual_fmac_f32 v49, v132, v24 :: v_dual_fmac_f32 v68, v138, v38
	v_fma_f32 v76, v139, v28, -v153
	v_add_f32_e32 v127, v155, v75
	v_dual_sub_f32 v129, v155, v75 :: v_dual_add_f32 v132, v144, v69
	s_delay_alu instid0(VALU_DEP_4)
	v_sub_f32_e32 v138, v145, v68
	v_sub_f32_e32 v134, v144, v69
	v_dual_sub_f32 v137, v157, v77 :: v_dual_sub_f32 v148, v80, v71
	v_dual_add_f32 v139, v83, v78 :: v_dual_add_f32 v126, v126, v144
	v_dual_add_f32 v143, v82, v79 :: v_dual_mul_f32 v144, 0xbeedf032, v130
	v_dual_sub_f32 v147, v82, v79 :: v_dual_mul_f32 v150, 0xbf52af12, v130
	v_dual_add_f32 v125, v125, v156 :: v_dual_mul_f32 v152, 0xbf7e222b, v130
	v_dual_add_f32 v136, v145, v68 :: v_dual_mul_f32 v151, 0xbf52af12, v129
	s_delay_alu instid0(VALU_DEP_3) | instskip(NEXT) | instid1(VALU_DEP_3)
	v_mul_f32_e32 v194, 0xbf52af12, v147
	v_dual_mul_f32 v190, 0xbf29c268, v147 :: v_dual_add_f32 v125, v125, v157
	v_dual_mul_f32 v193, 0xbf52af12, v148 :: v_dual_add_f32 v126, v126, v145
	v_fma_f32 v145, 0x3f62ad3f, v127, -v144
	v_fma_f32 v63, v131, v24, -v149
	v_dual_add_f32 v131, v156, v76 :: v_dual_add_f32 v140, v81, v67
	v_dual_sub_f32 v133, v156, v76 :: v_dual_sub_f32 v142, v81, v67
	v_dual_sub_f32 v141, v83, v78 :: v_dual_mul_f32 v158, 0xbf29c268, v129
	v_dual_mul_f32 v154, 0xbf6f5d39, v130 :: v_dual_mul_f32 v155, 0xbf6f5d39, v129
	v_mul_f32_e32 v156, 0xbf29c268, v130
	v_mul_f32_e32 v130, 0xbe750f2a, v130
	v_dual_fmac_f32 v144, 0x3f62ad3f, v127 :: v_dual_add_f32 v81, v126, v81
	v_mul_f32_e32 v149, 0xbeedf032, v129
	v_fma_f32 v199, 0x3f116cb1, v127, -v150
	v_dual_fmamk_f32 v200, v128, 0x3f116cb1, v151 :: v_dual_add_f32 v83, v125, v83
	v_dual_fmac_f32 v150, 0x3f116cb1, v127 :: v_dual_add_f32 v125, v60, v145
	v_mul_f32_e32 v153, 0xbf7e222b, v129
	v_mul_f32_e32 v129, 0xbe750f2a, v129
	v_dual_add_f32 v135, v157, v77 :: v_dual_add_f32 v146, v80, v71
	v_dual_mul_f32 v159, 0xbf52af12, v134 :: v_dual_mul_f32 v160, 0xbf52af12, v133
	v_dual_mul_f32 v161, 0xbf6f5d39, v134 :: v_dual_mul_f32 v162, 0xbf6f5d39, v133
	;; [unrolled: 1-line block ×12, first 2 shown]
	v_mul_f32_e32 v137, 0xbf29c268, v137
	v_dual_mul_f32 v179, 0xbf6f5d39, v142 :: v_dual_mul_f32 v180, 0xbf6f5d39, v141
	v_dual_mul_f32 v191, 0x3f7e222b, v148 :: v_dual_mul_f32 v192, 0x3f7e222b, v147
	v_fma_f32 v151, 0x3f116cb1, v128, -v151
	v_fma_f32 v201, 0x3df6dbef, v127, -v152
	v_fmac_f32_e32 v152, 0x3df6dbef, v127
	v_fma_f32 v203, 0xbeb58ec6, v127, -v154
	s_delay_alu instid0(VALU_DEP_4)
	v_dual_fmamk_f32 v204, v128, 0xbeb58ec6, v155 :: v_dual_add_f32 v151, v61, v151
	v_fmac_f32_e32 v154, 0xbeb58ec6, v127
	v_fma_f32 v155, 0xbeb58ec6, v128, -v155
	v_fma_f32 v205, 0xbf3f9e67, v127, -v156
	v_fmamk_f32 v206, v128, 0xbf3f9e67, v158
	v_fma_f32 v158, 0xbf3f9e67, v128, -v158
	v_fma_f32 v207, 0xbf788fa5, v127, -v130
	v_dual_fmamk_f32 v208, v128, 0xbf788fa5, v129 :: v_dual_add_f32 v155, v61, v155
	v_fmac_f32_e32 v130, 0xbf788fa5, v127
	v_add_f32_e32 v144, v60, v144
	v_fmamk_f32 v157, v128, 0x3f62ad3f, v149
	v_fma_f32 v149, 0x3f62ad3f, v128, -v149
	v_add_f32_e32 v150, v60, v150
	v_fmamk_f32 v202, v128, 0x3df6dbef, v153
	v_fma_f32 v153, 0x3df6dbef, v128, -v153
	v_fmac_f32_e32 v156, 0xbf3f9e67, v127
	v_fma_f32 v127, 0xbf788fa5, v128, -v129
	v_dual_mul_f32 v181, 0x3f29c268, v142 :: v_dual_mul_f32 v182, 0x3f29c268, v141
	v_dual_mul_f32 v183, 0x3eedf032, v142 :: v_dual_mul_f32 v184, 0x3eedf032, v141
	;; [unrolled: 1-line block ×5, first 2 shown]
	v_fma_f32 v128, 0x3f116cb1, v131, -v159
	v_dual_fmac_f32 v159, 0x3f116cb1, v131 :: v_dual_fmamk_f32 v226, v136, 0x3f116cb1, v178
	v_fma_f32 v209, 0xbeb58ec6, v131, -v161
	v_dual_fmamk_f32 v210, v132, 0xbeb58ec6, v162 :: v_dual_fmac_f32 v161, 0xbeb58ec6, v131
	v_fma_f32 v162, 0xbeb58ec6, v132, -v162
	v_fma_f32 v211, 0xbf788fa5, v131, -v163
	v_dual_fmamk_f32 v212, v132, 0xbf788fa5, v164 :: v_dual_fmac_f32 v163, 0xbf788fa5, v131
	v_fma_f32 v164, 0xbf788fa5, v132, -v164
	;; [unrolled: 3-line block ×4, first 2 shown]
	v_fma_f32 v217, 0x3f62ad3f, v131, -v134
	v_fmamk_f32 v218, v132, 0x3f62ad3f, v133
	v_fmac_f32_e32 v134, 0x3f62ad3f, v131
	v_dual_fmamk_f32 v129, v132, 0x3f116cb1, v160 :: v_dual_add_f32 v126, v61, v157
	v_fma_f32 v160, 0x3f116cb1, v132, -v160
	v_fma_f32 v131, 0x3f62ad3f, v132, -v133
	;; [unrolled: 1-line block ×3, first 2 shown]
	v_dual_fmac_f32 v169, 0x3df6dbef, v135 :: v_dual_fmamk_f32 v234, v140, 0x3df6dbef, v186
	v_fma_f32 v219, 0xbf788fa5, v135, -v171
	v_dual_fmamk_f32 v220, v136, 0xbf788fa5, v172 :: v_dual_fmac_f32 v171, 0xbf788fa5, v135
	v_fma_f32 v172, 0xbf788fa5, v136, -v172
	v_fma_f32 v221, 0xbeb58ec6, v135, -v173
	v_dual_fmamk_f32 v222, v136, 0xbeb58ec6, v174 :: v_dual_fmac_f32 v173, 0xbeb58ec6, v135
	v_fma_f32 v174, 0xbeb58ec6, v136, -v174
	;; [unrolled: 3-line block ×3, first 2 shown]
	v_fma_f32 v225, 0x3f116cb1, v135, -v177
	v_dual_fmac_f32 v177, 0x3f116cb1, v135 :: v_dual_fmamk_f32 v242, v146, 0x3f116cb1, v194
	v_fma_f32 v178, 0x3f116cb1, v136, -v178
	v_fma_f32 v227, 0xbf3f9e67, v135, -v138
	v_fmamk_f32 v228, v136, 0xbf3f9e67, v137
	v_fmac_f32_e32 v138, 0xbf3f9e67, v135
	v_fma_f32 v135, 0xbf3f9e67, v136, -v137
	v_fmamk_f32 v137, v140, 0xbeb58ec6, v180
	v_fma_f32 v239, 0x3df6dbef, v143, -v191
	v_fma_f32 v241, 0x3f116cb1, v143, -v193
	v_fmac_f32_e32 v193, 0x3f116cb1, v143
	v_add_f32_e32 v145, v61, v149
	v_fmamk_f32 v133, v136, 0x3df6dbef, v170
	v_fma_f32 v170, 0x3df6dbef, v136, -v170
	v_fma_f32 v136, 0xbeb58ec6, v139, -v179
	v_dual_add_f32 v149, v60, v199 :: v_dual_add_f32 v158, v61, v158
	v_add_f32_e32 v157, v61, v200
	v_dual_fmac_f32 v179, 0xbeb58ec6, v139 :: v_dual_add_f32 v152, v60, v152
	v_add_f32_e32 v199, v60, v201
	v_dual_fmac_f32 v191, 0x3df6dbef, v143 :: v_dual_add_f32 v154, v60, v154
	v_add_f32_e32 v200, v61, v202
	v_add_f32_e32 v153, v61, v153
	v_dual_add_f32 v201, v60, v203 :: v_dual_add_f32 v202, v61, v204
	v_dual_add_f32 v203, v60, v205 :: v_dual_add_f32 v204, v61, v206
	v_add_f32_e32 v206, v61, v208
	v_dual_add_f32 v156, v60, v156 :: v_dual_add_f32 v61, v61, v127
	v_add_f32_e32 v127, v209, v149
	v_add_f32_e32 v80, v81, v80
	v_fma_f32 v229, 0xbf3f9e67, v139, -v181
	v_fmac_f32_e32 v181, 0xbf3f9e67, v139
	v_fma_f32 v237, 0x3f116cb1, v139, -v142
	v_fmamk_f32 v238, v140, 0x3f116cb1, v141
	v_fmac_f32_e32 v142, 0x3f116cb1, v139
	v_dual_add_f32 v205, v60, v207 :: v_dual_add_f32 v82, v83, v82
	v_dual_add_f32 v60, v60, v130 :: v_dual_add_f32 v149, v163, v152
	v_add_f32_e32 v81, v128, v125
	v_add_f32_e32 v83, v129, v126
	v_dual_add_f32 v125, v159, v144 :: v_dual_add_f32 v126, v160, v145
	v_dual_add_f32 v129, v161, v150 :: v_dual_add_f32 v128, v210, v157
	;; [unrolled: 1-line block ×3, first 2 shown]
	s_delay_alu instid0(VALU_DEP_4)
	v_dual_add_f32 v150, v164, v153 :: v_dual_add_f32 v83, v133, v83
	v_dual_add_f32 v152, v214, v202 :: v_dual_add_f32 v157, v216, v204
	;; [unrolled: 1-line block ×3, first 2 shown]
	v_add_f32_e32 v159, v217, v205
	v_add_f32_e32 v155, v215, v203
	v_dual_add_f32 v156, v167, v156 :: v_dual_add_f32 v81, v132, v81
	v_dual_add_f32 v158, v168, v158 :: v_dual_add_f32 v61, v131, v61
	;; [unrolled: 1-line block ×4, first 2 shown]
	v_fma_f32 v231, 0x3f62ad3f, v139, -v183
	v_dual_fmamk_f32 v232, v140, 0x3f62ad3f, v184 :: v_dual_fmac_f32 v183, 0x3f62ad3f, v139
	v_fma_f32 v233, 0x3df6dbef, v139, -v185
	v_dual_fmac_f32 v185, 0x3df6dbef, v139 :: v_dual_fmamk_f32 v240, v146, 0x3df6dbef, v192
	v_fma_f32 v186, 0x3df6dbef, v140, -v186
	v_fma_f32 v235, 0xbf788fa5, v139, -v187
	v_dual_fmamk_f32 v236, v140, 0xbf788fa5, v188 :: v_dual_fmac_f32 v187, 0xbf788fa5, v139
	v_fma_f32 v139, 0x3f116cb1, v140, -v141
	v_fmamk_f32 v141, v146, 0xbf3f9e67, v190
	v_dual_add_f32 v130, v162, v151 :: v_dual_add_f32 v151, v213, v201
	v_dual_add_f32 v60, v134, v60 :: v_dual_add_f32 v127, v219, v127
	;; [unrolled: 1-line block ×7, first 2 shown]
	v_add_f32_e32 v150, v176, v154
	v_dual_add_f32 v152, v226, v157 :: v_dual_add_f32 v83, v137, v83
	v_dual_add_f32 v154, v178, v158 :: v_dual_add_f32 v61, v135, v61
	;; [unrolled: 1-line block ×4, first 2 shown]
	v_add_f32_e32 v130, v172, v130
	v_dual_add_f32 v144, v223, v151 :: v_dual_add_f32 v81, v136, v81
	v_add_f32_e32 v151, v225, v155
	v_dual_add_f32 v155, v227, v159 :: v_dual_add_f32 v60, v138, v60
	;; [unrolled: 2-line block ×3, first 2 shown]
	v_dual_add_f32 v136, v234, v145 :: v_dual_add_f32 v145, v236, v152
	v_dual_add_f32 v138, v186, v150 :: v_dual_add_f32 v139, v139, v61
	;; [unrolled: 1-line block ×3, first 2 shown]
	v_add_f32_e32 v142, v142, v60
	v_fmamk_f32 v230, v140, 0xbf3f9e67, v182
	v_dual_mul_f32 v195, 0x3e750f2a, v148 :: v_dual_mul_f32 v196, 0x3e750f2a, v147
	s_delay_alu instid0(VALU_DEP_4) | instskip(SKIP_3) | instid1(VALU_DEP_3)
	v_add_f32_e32 v61, v61, v67
	v_dual_add_f32 v60, v82, v79 :: v_dual_mul_f32 v197, 0x3eedf032, v148
	v_mul_f32_e32 v198, 0x3eedf032, v147
	v_fma_f32 v180, 0xbeb58ec6, v140, -v180
	v_dual_add_f32 v61, v61, v68 :: v_dual_add_f32 v60, v60, v78
	v_add_f32_e32 v67, v239, v127
	v_fma_f32 v182, 0xbf3f9e67, v140, -v182
	v_fma_f32 v184, 0x3f62ad3f, v140, -v184
	;; [unrolled: 1-line block ×4, first 2 shown]
	v_dual_fmac_f32 v189, 0xbf3f9e67, v143 :: v_dual_add_f32 v128, v230, v128
	v_dual_add_f32 v137, v185, v149 :: v_dual_add_f32 v132, v232, v132
	v_add_f32_e32 v149, v187, v153
	v_add_f32_e32 v60, v60, v77
	v_fma_f32 v190, 0xbf3f9e67, v146, -v190
	v_fma_f32 v243, 0xbf788fa5, v143, -v195
	v_dual_add_f32 v126, v180, v126 :: v_dual_add_f32 v133, v183, v133
	v_dual_add_f32 v130, v182, v130 :: v_dual_add_f32 v135, v233, v144
	;; [unrolled: 1-line block ×3, first 2 shown]
	s_delay_alu instid0(VALU_DEP_3)
	v_dual_add_f32 v80, v189, v125 :: v_dual_add_f32 v81, v190, v126
	v_add_f32_e32 v125, v242, v132
	v_dual_add_f32 v60, v60, v76 :: v_dual_add_f32 v61, v61, v69
	v_fma_f32 v68, 0xbf788fa5, v146, -v196
	v_fma_f32 v69, 0x3f62ad3f, v143, -v197
	v_dual_fmamk_f32 v244, v146, 0xbf788fa5, v196 :: v_dual_fmac_f32 v195, 0xbf788fa5, v143
	v_dual_add_f32 v150, v188, v154 :: v_dual_add_f32 v79, v141, v83
	v_dual_add_f32 v78, v240, v128 :: v_dual_add_f32 v83, v241, v131
	v_dual_add_f32 v128, v243, v135 :: v_dual_add_f32 v61, v61, v70
	v_dual_fmamk_f32 v70, v146, 0x3f62ad3f, v198 :: v_dual_add_f32 v131, v68, v138
	v_add_f32_e32 v60, v60, v75
	v_dual_mul_f32 v68, 0xbf6f5d39, v148 :: v_dual_mul_f32 v75, 0xbf6f5d39, v147
	v_dual_add_f32 v132, v69, v144 :: v_dual_fmac_f32 v197, 0x3f62ad3f, v143
	v_fma_f32 v69, 0x3f62ad3f, v146, -v198
	v_fma_f32 v192, 0x3df6dbef, v146, -v192
	;; [unrolled: 1-line block ×3, first 2 shown]
	v_dual_add_f32 v134, v184, v134 :: v_dual_add_f32 v151, v237, v155
	s_delay_alu instid0(VALU_DEP_3) | instskip(NEXT) | instid1(VALU_DEP_2)
	v_dual_add_f32 v82, v191, v129 :: v_dual_add_f32 v77, v192, v130
	v_dual_add_f32 v126, v193, v133 :: v_dual_add_f32 v127, v194, v134
	;; [unrolled: 1-line block ×3, first 2 shown]
	v_add_f32_e32 v133, v70, v145
	v_fma_f32 v70, 0xbeb58ec6, v143, -v68
	v_dual_sub_f32 v135, v48, v49 :: v_dual_add_f32 v136, v69, v150
	v_dual_fmamk_f32 v69, v146, 0xbeb58ec6, v75 :: v_dual_fmac_f32 v68, 0xbeb58ec6, v143
	s_delay_alu instid0(VALU_DEP_3) | instskip(SKIP_1) | instid1(VALU_DEP_3)
	v_dual_add_f32 v134, v197, v149 :: v_dual_add_f32 v137, v70, v151
	v_dual_add_f32 v138, v62, v63 :: v_dual_add_f32 v141, v48, v49
	v_dual_sub_f32 v140, v62, v63 :: v_dual_add_f32 v143, v69, v152
	v_mul_f32_e32 v70, 0xbe750f2a, v135
	v_mul_f32_e32 v69, 0x3eedf032, v135
	v_fma_f32 v62, 0xbeb58ec6, v146, -v75
	s_delay_alu instid0(VALU_DEP_4) | instskip(NEXT) | instid1(VALU_DEP_4)
	v_dual_mul_f32 v49, 0xbe750f2a, v140 :: v_dual_add_f32 v142, v68, v142
	v_fma_f32 v48, 0xbf788fa5, v138, -v70
	s_delay_alu instid0(VALU_DEP_3) | instskip(NEXT) | instid1(VALU_DEP_3)
	v_dual_mul_f32 v68, 0x3eedf032, v140 :: v_dual_add_f32 v139, v62, v139
	v_fma_f32 v63, 0xbf788fa5, v141, -v49
	s_delay_alu instid0(VALU_DEP_3) | instskip(SKIP_4) | instid1(VALU_DEP_4)
	v_add_f32_e32 v48, v48, v71
	v_fma_f32 v71, 0x3f62ad3f, v138, -v69
	v_fmamk_f32 v62, v141, 0xbf788fa5, v49
	v_fmac_f32_e32 v69, 0x3f62ad3f, v138
	v_dual_mul_f32 v76, 0xbf29c268, v140 :: v_dual_add_f32 v63, v63, v81
	v_dual_add_f32 v67, v71, v67 :: v_dual_fmac_f32 v70, 0xbf788fa5, v138
	s_delay_alu instid0(VALU_DEP_4) | instskip(SKIP_2) | instid1(VALU_DEP_4)
	v_add_f32_e32 v49, v62, v79
	v_fma_f32 v71, 0x3f62ad3f, v141, -v68
	v_mul_f32_e32 v79, 0xbf29c268, v135
	v_dual_add_f32 v69, v69, v82 :: v_dual_add_f32 v62, v70, v80
	v_fmamk_f32 v70, v141, 0x3f62ad3f, v68
	v_mul_f32_e32 v81, 0x3f52af12, v140
	s_delay_alu instid0(VALU_DEP_4) | instskip(NEXT) | instid1(VALU_DEP_3)
	v_fma_f32 v75, 0xbf3f9e67, v138, -v79
	v_add_f32_e32 v68, v70, v78
	v_dual_add_f32 v70, v71, v77 :: v_dual_fmamk_f32 v77, v141, 0xbf3f9e67, v76
	v_mul_f32_e32 v71, 0x3f52af12, v135
	v_fma_f32 v78, 0xbf3f9e67, v141, -v76
	v_fmac_f32_e32 v79, 0xbf3f9e67, v138
	s_delay_alu instid0(VALU_DEP_4) | instskip(NEXT) | instid1(VALU_DEP_4)
	v_dual_add_f32 v75, v75, v83 :: v_dual_add_f32 v76, v77, v125
	v_fma_f32 v80, 0x3f116cb1, v138, -v71
	s_delay_alu instid0(VALU_DEP_3) | instskip(SKIP_1) | instid1(VALU_DEP_3)
	v_dual_add_f32 v78, v78, v127 :: v_dual_add_f32 v77, v79, v126
	v_mul_f32_e32 v83, 0xbf6f5d39, v135
	v_add_f32_e32 v79, v80, v128
	v_mul_f32_e32 v128, 0xbf6f5d39, v140
	v_fmamk_f32 v80, v141, 0x3f116cb1, v81
	s_delay_alu instid0(VALU_DEP_2) | instskip(NEXT) | instid1(VALU_DEP_2)
	v_fmamk_f32 v126, v141, 0xbeb58ec6, v128
	v_dual_fmac_f32 v71, 0x3f116cb1, v138 :: v_dual_add_f32 v80, v80, v129
	v_fma_f32 v82, 0x3f116cb1, v141, -v81
	s_delay_alu instid0(VALU_DEP_3) | instskip(NEXT) | instid1(VALU_DEP_3)
	v_dual_mul_f32 v129, 0x3f7e222b, v140 :: v_dual_add_f32 v126, v126, v133
	v_add_f32_e32 v81, v71, v130
	v_fma_f32 v71, 0xbeb58ec6, v138, -v83
	s_delay_alu instid0(VALU_DEP_4) | instskip(SKIP_2) | instid1(VALU_DEP_4)
	v_dual_fmac_f32 v83, 0xbeb58ec6, v138 :: v_dual_add_f32 v82, v82, v131
	v_fma_f32 v128, 0xbeb58ec6, v141, -v128
	v_mul_f32_e32 v131, 0x3f7e222b, v135
	v_add_f32_e32 v125, v71, v132
	s_delay_alu instid0(VALU_DEP_4) | instskip(NEXT) | instid1(VALU_DEP_4)
	v_add_f32_e32 v127, v83, v134
	v_dual_fmamk_f32 v83, v141, 0x3df6dbef, v129 :: v_dual_add_f32 v128, v128, v136
	s_delay_alu instid0(VALU_DEP_4) | instskip(NEXT) | instid1(VALU_DEP_2)
	v_fma_f32 v71, 0x3df6dbef, v138, -v131
	v_dual_fmac_f32 v131, 0x3df6dbef, v138 :: v_dual_add_f32 v130, v83, v143
	v_fma_f32 v132, 0x3df6dbef, v141, -v129
	s_delay_alu instid0(VALU_DEP_3) | instskip(NEXT) | instid1(VALU_DEP_2)
	v_add_f32_e32 v129, v71, v137
	v_dual_add_f32 v131, v131, v142 :: v_dual_add_f32 v132, v132, v139
	ds_store_2addr_b64 v118, v[60:61], v[48:49] offset1:78
	ds_store_2addr_b64 v118, v[67:68], v[75:76] offset0:156 offset1:234
	ds_store_2addr_b64 v74, v[79:80], v[125:126] offset0:56 offset1:134
	ds_store_2addr_b64 v73, v[129:130], v[131:132] offset0:84 offset1:162
	ds_store_2addr_b64 v124, v[127:128], v[81:82] offset0:112 offset1:190
	ds_store_2addr_b64 v123, v[77:78], v[69:70] offset0:12 offset1:90
	ds_store_b64 v118, v[62:63] offset:7488
	global_wb scope:SCOPE_SE
	s_wait_dscnt 0x0
	s_barrier_signal -1
	s_barrier_wait -1
	global_inv scope:SCOPE_SE
	s_clause 0xc
	global_load_b64 v[48:49], v[64:65], off offset:8112
	global_load_b64 v[129:130], v66, s[2:3] offset:624
	global_load_b64 v[131:132], v66, s[2:3] offset:1248
	;; [unrolled: 1-line block ×12, first 2 shown]
	ds_load_2addr_b64 v[60:63], v118 offset1:78
	ds_load_2addr_b64 v[64:67], v118 offset0:156 offset1:234
	ds_load_2addr_b64 v[68:71], v74 offset0:56 offset1:134
	;; [unrolled: 1-line block ×5, first 2 shown]
	ds_load_b64 v[153:154], v118 offset:7488
	s_wait_loadcnt_dscnt 0xc06
	v_mul_f32_e32 v155, v61, v49
	s_wait_loadcnt 0xb
	v_dual_mul_f32 v156, v60, v49 :: v_dual_mul_f32 v157, v63, v130
	s_wait_loadcnt_dscnt 0xa05
	v_dual_mul_f32 v49, v62, v130 :: v_dual_mul_f32 v158, v65, v132
	s_wait_loadcnt 0x9
	v_dual_mul_f32 v130, v64, v132 :: v_dual_mul_f32 v159, v67, v134
	v_mul_f32_e32 v132, v66, v134
	s_wait_loadcnt_dscnt 0x402
	v_mul_f32_e32 v164, v80, v144
	v_mul_f32_e32 v160, v69, v136
	v_dual_mul_f32 v134, v68, v136 :: v_dual_mul_f32 v161, v71, v138
	s_wait_loadcnt_dscnt 0x201
	v_mul_f32_e32 v166, v126, v148
	v_mul_f32_e32 v136, v70, v138
	;; [unrolled: 1-line block ×3, first 2 shown]
	v_dual_mul_f32 v138, v75, v140 :: v_dual_mul_f32 v163, v78, v142
	v_dual_mul_f32 v140, v77, v142 :: v_dual_fmac_f32 v49, v63, v129
	v_dual_mul_f32 v142, v79, v144 :: v_dual_mul_f32 v165, v82, v146
	v_mul_f32_e32 v83, v125, v148
	v_mul_f32_e32 v144, v81, v146
	s_wait_loadcnt 0x1
	v_mul_f32_e32 v167, v128, v150
	v_mul_f32_e32 v146, v127, v150
	s_wait_loadcnt_dscnt 0x0
	v_mul_f32_e32 v150, v154, v152
	v_mul_f32_e32 v148, v153, v152
	v_fma_f32 v155, v60, v48, -v155
	v_fmac_f32_e32 v156, v61, v48
	v_fma_f32 v48, v62, v129, -v157
	v_fma_f32 v129, v64, v131, -v158
	v_fmac_f32_e32 v130, v65, v131
	v_fma_f32 v131, v66, v133, -v159
	v_fmac_f32_e32 v132, v67, v133
	;; [unrolled: 2-line block ×8, first 2 shown]
	v_fmac_f32_e32 v144, v82, v145
	v_fma_f32 v82, v125, v147, -v166
	v_fma_f32 v145, v127, v149, -v167
	v_fmac_f32_e32 v146, v128, v149
	v_fma_f32 v147, v153, v151, -v150
	v_fmac_f32_e32 v148, v154, v151
	ds_store_2addr_b64 v118, v[155:156], v[48:49] offset1:78
	ds_store_2addr_b64 v118, v[129:130], v[131:132] offset0:156 offset1:234
	ds_store_2addr_b64 v74, v[133:134], v[135:136] offset0:56 offset1:134
	;; [unrolled: 1-line block ×5, first 2 shown]
	ds_store_b64 v118, v[147:148] offset:7488
	global_wb scope:SCOPE_SE
	s_wait_dscnt 0x0
	s_barrier_signal -1
	s_barrier_wait -1
	global_inv scope:SCOPE_SE
	ds_load_2addr_b64 v[75:78], v118 offset1:78
	ds_load_b64 v[48:49], v118 offset:7488
	ds_load_2addr_b64 v[79:82], v118 offset0:156 offset1:234
	ds_load_2addr_b64 v[125:128], v123 offset0:12 offset1:90
	;; [unrolled: 1-line block ×5, first 2 shown]
	global_wb scope:SCOPE_SE
	s_wait_dscnt 0x0
	s_barrier_signal -1
	s_barrier_wait -1
	global_inv scope:SCOPE_SE
	v_add_f32_e32 v83, v75, v77
	v_add_f32_e32 v129, v76, v78
	v_dual_add_f32 v131, v49, v78 :: v_dual_sub_f32 v78, v78, v49
	v_dual_add_f32 v133, v128, v80 :: v_dual_add_f32 v132, v127, v79
	v_sub_f32_e32 v134, v79, v127
	v_add_f32_e32 v79, v83, v79
	v_sub_f32_e32 v135, v80, v128
	s_delay_alu instid0(VALU_DEP_4)
	v_mul_f32_e32 v155, 0xbeb58ec6, v133
	v_dual_add_f32 v136, v125, v81 :: v_dual_mul_f32 v145, 0x3f116cb1, v131
	v_dual_add_f32 v137, v126, v82 :: v_dual_sub_f32 v138, v81, v125
	v_mul_f32_e32 v147, 0x3df6dbef, v131
	v_sub_f32_e32 v139, v82, v126
	v_dual_add_f32 v140, v70, v64 :: v_dual_mul_f32 v149, 0xbeb58ec6, v131
	v_dual_sub_f32 v142, v64, v70 :: v_dual_mul_f32 v151, 0xbf3f9e67, v131
	v_dual_add_f32 v80, v129, v80 :: v_dual_mul_f32 v129, 0x3f62ad3f, v131
	v_dual_mul_f32 v131, 0xbf788fa5, v131 :: v_dual_add_f32 v130, v48, v77
	v_mul_f32_e32 v83, 0xbeedf032, v78
	v_dual_sub_f32 v77, v77, v48 :: v_dual_mul_f32 v144, 0xbf52af12, v78
	v_dual_add_f32 v79, v79, v81 :: v_dual_mul_f32 v146, 0xbf7e222b, v78
	v_mul_f32_e32 v148, 0xbf6f5d39, v78
	v_mul_f32_e32 v150, 0xbf29c268, v78
	v_dual_mul_f32 v78, 0xbe750f2a, v78 :: v_dual_add_f32 v141, v71, v65
	v_sub_f32_e32 v143, v65, v71
	v_mul_f32_e32 v152, 0xbf52af12, v135
	v_mul_f32_e32 v153, 0x3f116cb1, v133
	v_mul_f32_e32 v154, 0xbf6f5d39, v135
	v_dual_mul_f32 v157, 0xbf788fa5, v133 :: v_dual_add_f32 v80, v80, v82
	v_mul_f32_e32 v156, 0xbe750f2a, v135
	v_dual_mul_f32 v158, 0x3f29c268, v135 :: v_dual_fmamk_f32 v181, v77, 0x3f29c268, v151
	v_dual_mul_f32 v160, 0x3f7e222b, v135 :: v_dual_fmamk_f32 v177, v77, 0x3f7e222b, v147
	;; [unrolled: 1-line block ×3, first 2 shown]
	s_delay_alu instid0(VALU_DEP_2)
	v_dual_mul_f32 v163, 0x3df6dbef, v137 :: v_dual_fmamk_f32 v190, v132, 0x3df6dbef, v160
	v_dual_mul_f32 v166, 0x3f6f5d39, v139 :: v_dual_fmamk_f32 v179, v77, 0x3f6f5d39, v149
	v_mul_f32_e32 v168, 0x3eedf032, v139
	v_mul_f32_e32 v170, 0xbf52af12, v139
	v_dual_mul_f32 v171, 0x3f116cb1, v137 :: v_dual_fmamk_f32 v174, v130, 0x3f116cb1, v144
	v_dual_fmamk_f32 v81, v130, 0x3f62ad3f, v83 :: v_dual_add_f32 v64, v79, v64
	v_fma_f32 v83, 0x3f62ad3f, v130, -v83
	v_fmac_f32_e32 v129, 0xbeedf032, v77
	v_fmamk_f32 v175, v77, 0x3f52af12, v145
	v_fma_f32 v144, 0x3f116cb1, v130, -v144
	v_fmac_f32_e32 v145, 0xbf52af12, v77
	v_fmac_f32_e32 v147, 0xbf7e222b, v77
	v_dual_mul_f32 v161, 0x3df6dbef, v133 :: v_dual_fmamk_f32 v176, v130, 0x3df6dbef, v146
	v_mul_f32_e32 v162, 0xbf7e222b, v139
	v_fma_f32 v146, 0x3df6dbef, v130, -v146
	v_fmac_f32_e32 v149, 0xbf6f5d39, v77
	s_delay_alu instid0(VALU_DEP_4) | instskip(SKIP_1) | instid1(VALU_DEP_4)
	v_fmamk_f32 v191, v134, 0xbf7e222b, v161
	v_dual_mul_f32 v167, 0xbeb58ec6, v137 :: v_dual_fmamk_f32 v178, v130, 0xbeb58ec6, v148
	v_dual_fmac_f32 v151, 0xbf29c268, v77 :: v_dual_add_f32 v146, v75, v146
	v_fmamk_f32 v183, v77, 0x3e750f2a, v131
	v_fmac_f32_e32 v131, 0xbe750f2a, v77
	v_dual_mul_f32 v165, 0xbf788fa5, v137 :: v_dual_fmamk_f32 v182, v130, 0xbf788fa5, v78
	v_mul_f32_e32 v164, 0xbe750f2a, v139
	v_mul_f32_e32 v139, 0xbf29c268, v139
	v_dual_mul_f32 v159, 0xbf3f9e67, v133 :: v_dual_fmamk_f32 v180, v130, 0xbf3f9e67, v150
	v_dual_mul_f32 v133, 0x3f62ad3f, v133 :: v_dual_fmamk_f32 v192, v132, 0x3f62ad3f, v135
	v_fma_f32 v150, 0xbf3f9e67, v130, -v150
	v_dual_mul_f32 v172, 0xbf6f5d39, v143 :: v_dual_fmamk_f32 v197, v138, 0xbf6f5d39, v167
	v_fma_f32 v148, 0xbeb58ec6, v130, -v148
	v_fma_f32 v78, 0xbf788fa5, v130, -v78
	v_fmamk_f32 v77, v132, 0x3f116cb1, v152
	v_dual_fmamk_f32 v130, v134, 0x3f52af12, v153 :: v_dual_add_f32 v65, v80, v65
	v_fma_f32 v152, 0x3f116cb1, v132, -v152
	v_fmac_f32_e32 v153, 0xbf52af12, v134
	v_fmamk_f32 v185, v134, 0x3f6f5d39, v155
	v_fmac_f32_e32 v155, 0xbf6f5d39, v134
	v_dual_mul_f32 v173, 0xbeb58ec6, v141 :: v_dual_fmamk_f32 v184, v132, 0xbeb58ec6, v154
	v_fma_f32 v154, 0xbeb58ec6, v132, -v154
	v_fmamk_f32 v187, v134, 0x3e750f2a, v157
	v_fmac_f32_e32 v157, 0xbe750f2a, v134
	v_dual_fmamk_f32 v186, v132, 0xbf788fa5, v156 :: v_dual_add_f32 v79, v75, v81
	v_fma_f32 v156, 0xbf788fa5, v132, -v156
	v_fmamk_f32 v188, v132, 0xbf3f9e67, v158
	v_fmamk_f32 v189, v134, 0xbf29c268, v159
	v_fma_f32 v158, 0xbf3f9e67, v132, -v158
	v_fmac_f32_e32 v159, 0x3f29c268, v134
	v_fma_f32 v160, 0x3df6dbef, v132, -v160
	v_fmac_f32_e32 v161, 0x3f7e222b, v134
	v_dual_fmamk_f32 v193, v134, 0xbeedf032, v133 :: v_dual_add_f32 v150, v75, v150
	v_fma_f32 v132, 0x3f62ad3f, v132, -v135
	v_fmac_f32_e32 v133, 0x3eedf032, v134
	v_dual_mul_f32 v169, 0x3f62ad3f, v137 :: v_dual_fmamk_f32 v198, v136, 0x3f62ad3f, v168
	v_mul_f32_e32 v137, 0xbf3f9e67, v137
	v_dual_fmamk_f32 v134, v136, 0x3df6dbef, v162 :: v_dual_add_f32 v81, v75, v83
	v_dual_fmamk_f32 v135, v138, 0x3f7e222b, v163 :: v_dual_add_f32 v64, v64, v66
	v_fma_f32 v162, 0x3df6dbef, v136, -v162
	v_fmamk_f32 v196, v136, 0xbeb58ec6, v166
	v_fma_f32 v166, 0xbeb58ec6, v136, -v166
	v_fma_f32 v168, 0x3f62ad3f, v136, -v168
	v_fmamk_f32 v200, v136, 0x3f116cb1, v170
	v_fma_f32 v170, 0x3f116cb1, v136, -v170
	v_fmamk_f32 v202, v136, 0xbf3f9e67, v139
	v_add_f32_e32 v80, v76, v82
	v_dual_fmac_f32 v163, 0xbf7e222b, v138 :: v_dual_add_f32 v82, v76, v129
	v_fmamk_f32 v195, v138, 0x3e750f2a, v165
	v_fmac_f32_e32 v165, 0xbe750f2a, v138
	v_dual_fmamk_f32 v194, v136, 0xbf788fa5, v164 :: v_dual_add_f32 v83, v75, v174
	v_fma_f32 v164, 0xbf788fa5, v136, -v164
	v_fma_f32 v136, 0xbf3f9e67, v136, -v139
	v_add_f32_e32 v129, v76, v175
	v_dual_add_f32 v139, v75, v144 :: v_dual_add_f32 v144, v76, v145
	v_dual_add_f32 v145, v75, v176 :: v_dual_add_f32 v174, v76, v177
	v_add_f32_e32 v147, v76, v147
	v_dual_add_f32 v175, v75, v178 :: v_dual_add_f32 v176, v76, v179
	v_add_f32_e32 v149, v76, v149
	;; [unrolled: 2-line block ×3, first 2 shown]
	v_add_f32_e32 v151, v76, v151
	v_add_f32_e32 v180, v76, v183
	v_dual_add_f32 v76, v76, v131 :: v_dual_fmamk_f32 v199, v138, 0xbeedf032, v169
	v_fmac_f32_e32 v169, 0x3eedf032, v138
	v_fmamk_f32 v201, v138, 0x3f52af12, v171
	v_fmac_f32_e32 v171, 0xbf52af12, v138
	v_fmamk_f32 v203, v138, 0x3f29c268, v137
	v_dual_fmac_f32 v137, 0xbf29c268, v138 :: v_dual_add_f32 v148, v75, v148
	v_add_f32_e32 v179, v75, v182
	v_dual_add_f32 v75, v75, v78 :: v_dual_add_f32 v64, v64, v60
	v_dual_add_f32 v76, v133, v76 :: v_dual_fmac_f32 v167, 0x3f6f5d39, v138
	v_dual_fmamk_f32 v138, v140, 0xbeb58ec6, v172 :: v_dual_add_f32 v77, v77, v79
	s_delay_alu instid0(VALU_DEP_3) | instskip(SKIP_3) | instid1(VALU_DEP_4)
	v_add_f32_e32 v64, v64, v62
	v_dual_add_f32 v78, v130, v80 :: v_dual_add_f32 v79, v152, v81
	v_dual_add_f32 v130, v186, v145 :: v_dual_add_f32 v145, v188, v175
	v_add_f32_e32 v81, v184, v83
	v_dual_add_f32 v83, v154, v139 :: v_dual_add_f32 v64, v64, v68
	s_delay_alu instid0(VALU_DEP_3) | instskip(SKIP_2) | instid1(VALU_DEP_4)
	v_dual_add_f32 v65, v65, v67 :: v_dual_add_f32 v130, v196, v130
	v_add_f32_e32 v80, v153, v82
	v_dual_add_f32 v82, v185, v129 :: v_dual_add_f32 v129, v155, v144
	v_add_f32_e32 v64, v64, v70
	v_add_f32_e32 v78, v135, v78
	v_dual_add_f32 v144, v157, v147 :: v_dual_add_f32 v147, v158, v148
	v_add_f32_e32 v152, v191, v178
	s_delay_alu instid0(VALU_DEP_4) | instskip(SKIP_1) | instid1(VALU_DEP_4)
	v_add_f32_e32 v64, v64, v125
	v_add_f32_e32 v65, v65, v61
	;; [unrolled: 1-line block ×6, first 2 shown]
	v_dual_add_f32 v65, v65, v63 :: v_dual_add_f32 v80, v163, v80
	v_add_f32_e32 v148, v159, v149
	v_dual_add_f32 v82, v195, v82 :: v_dual_add_f32 v151, v161, v151
	s_delay_alu instid0(VALU_DEP_3) | instskip(NEXT) | instid1(VALU_DEP_3)
	v_dual_add_f32 v64, v64, v48 :: v_dual_add_f32 v65, v65, v69
	v_dual_add_f32 v131, v187, v174 :: v_dual_add_f32 v70, v169, v148
	v_dual_add_f32 v146, v189, v176 :: v_dual_add_f32 v149, v190, v177
	s_delay_alu instid0(VALU_DEP_3) | instskip(SKIP_3) | instid1(VALU_DEP_4)
	v_add_f32_e32 v65, v65, v71
	v_add_f32_e32 v144, v201, v152
	;; [unrolled: 1-line block ×3, first 2 shown]
	v_dual_add_f32 v75, v136, v75 :: v_dual_mul_f32 v136, 0xbf3f9e67, v141
	v_dual_add_f32 v65, v65, v126 :: v_dual_add_f32 v126, v171, v151
	v_dual_add_f32 v154, v193, v180 :: v_dual_add_f32 v83, v164, v83
	v_add_f32_e32 v76, v137, v76
	s_delay_alu instid0(VALU_DEP_3)
	v_add_f32_e32 v65, v65, v128
	v_fma_f32 v128, 0xbeb58ec6, v140, -v172
	v_add_f32_e32 v131, v197, v131
	v_add_f32_e32 v135, v199, v146
	;; [unrolled: 1-line block ×4, first 2 shown]
	v_fmamk_f32 v49, v142, 0x3f6f5d39, v173
	v_fmac_f32_e32 v173, 0xbf6f5d39, v142
	v_add_f32_e32 v77, v134, v77
	v_add_f32_e32 v134, v198, v145
	;; [unrolled: 1-line block ×4, first 2 shown]
	v_dual_add_f32 v80, v173, v80 :: v_dual_add_f32 v153, v192, v179
	v_dual_add_f32 v48, v138, v77 :: v_dual_mul_f32 v77, 0x3f29c268, v143
	v_add_f32_e32 v79, v162, v79
	v_mul_f32_e32 v137, 0x3eedf032, v143
	v_add_f32_e32 v129, v165, v129
	v_mul_f32_e32 v138, 0x3df6dbef, v141
	v_fmamk_f32 v78, v140, 0xbf3f9e67, v77
	v_dual_add_f32 v79, v128, v79 :: v_dual_fmamk_f32 v128, v142, 0xbf29c268, v136
	v_fma_f32 v77, 0xbf3f9e67, v140, -v77
	v_fmac_f32_e32 v136, 0x3f29c268, v142
	s_delay_alu instid0(VALU_DEP_4) | instskip(NEXT) | instid1(VALU_DEP_4)
	v_dual_add_f32 v78, v78, v81 :: v_dual_add_f32 v127, v203, v154
	v_add_f32_e32 v81, v128, v82
	v_fmamk_f32 v82, v140, 0x3f62ad3f, v137
	v_dual_mul_f32 v128, 0x3f62ad3f, v141 :: v_dual_add_f32 v77, v77, v83
	v_add_f32_e32 v83, v136, v129
	v_mul_f32_e32 v129, 0xbf7e222b, v143
	s_delay_alu instid0(VALU_DEP_4) | instskip(NEXT) | instid1(VALU_DEP_4)
	v_dual_add_f32 v139, v168, v147 :: v_dual_add_f32 v82, v82, v130
	v_fmamk_f32 v130, v142, 0xbeedf032, v128
	v_fmac_f32_e32 v128, 0x3eedf032, v142
	v_fma_f32 v136, 0x3f62ad3f, v140, -v137
	v_fmamk_f32 v137, v140, 0x3df6dbef, v129
	s_delay_alu instid0(VALU_DEP_4) | instskip(SKIP_1) | instid1(VALU_DEP_4)
	v_dual_add_f32 v71, v200, v149 :: v_dual_add_f32 v130, v130, v131
	v_add_f32_e32 v145, v202, v153
	v_add_f32_e32 v131, v136, v132
	;; [unrolled: 1-line block ×3, first 2 shown]
	v_dual_add_f32 v132, v137, v134 :: v_dual_fmamk_f32 v133, v142, 0x3f7e222b, v138
	v_mul_f32_e32 v134, 0x3e750f2a, v143
	v_mul_f32_e32 v136, 0xbf788fa5, v141
	v_fmac_f32_e32 v138, 0xbf7e222b, v142
	v_fma_f32 v129, 0x3df6dbef, v140, -v129
	v_add_f32_e32 v133, v133, v135
	v_fmamk_f32 v135, v140, 0xbf788fa5, v134
	v_fmamk_f32 v137, v142, 0xbe750f2a, v136
	v_add_f32_e32 v70, v138, v70
	v_mul_f32_e32 v138, 0x3f52af12, v143
	v_fma_f32 v134, 0xbf788fa5, v140, -v134
	v_dual_add_f32 v129, v129, v139 :: v_dual_fmac_f32 v136, 0x3e750f2a, v142
	v_mul_f32_e32 v139, 0x3f116cb1, v141
	v_add_f32_e32 v141, v68, v66
	s_delay_alu instid0(VALU_DEP_4)
	v_add_f32_e32 v125, v134, v125
	v_sub_f32_e32 v134, v67, v69
	v_dual_sub_f32 v66, v66, v68 :: v_dual_add_f32 v71, v135, v71
	v_add_f32_e32 v67, v69, v67
	v_add_f32_e32 v135, v137, v144
	v_fmamk_f32 v137, v140, 0x3f116cb1, v138
	v_add_f32_e32 v126, v136, v126
	v_fma_f32 v69, 0x3f116cb1, v140, -v138
	v_mul_f32_e32 v138, 0xbf3f9e67, v67
	v_mul_f32_e32 v140, 0xbf788fa5, v67
	v_dual_add_f32 v136, v137, v145 :: v_dual_mul_f32 v143, 0xbf29c268, v134
	v_fmamk_f32 v137, v142, 0xbf52af12, v139
	v_fmac_f32_e32 v139, 0x3f52af12, v142
	v_add_f32_e32 v69, v69, v75
	s_delay_alu instid0(VALU_DEP_4) | instskip(NEXT) | instid1(VALU_DEP_4)
	v_fmamk_f32 v68, v141, 0xbf3f9e67, v143
	v_add_f32_e32 v127, v137, v127
	s_delay_alu instid0(VALU_DEP_4) | instskip(SKIP_1) | instid1(VALU_DEP_4)
	v_dual_add_f32 v75, v139, v76 :: v_dual_mul_f32 v76, 0x3f7e222b, v134
	v_fma_f32 v137, 0xbf3f9e67, v141, -v143
	v_add_f32_e32 v48, v68, v48
	v_fmamk_f32 v68, v66, 0x3f29c268, v138
	v_fmac_f32_e32 v138, 0xbf29c268, v66
	v_mul_f32_e32 v139, 0x3df6dbef, v67
	v_add_f32_e32 v79, v137, v79
	s_delay_alu instid0(VALU_DEP_4) | instskip(NEXT) | instid1(VALU_DEP_4)
	v_dual_add_f32 v49, v68, v49 :: v_dual_fmamk_f32 v68, v141, 0x3df6dbef, v76
	v_add_f32_e32 v80, v138, v80
	s_delay_alu instid0(VALU_DEP_4)
	v_fmamk_f32 v137, v66, 0xbf7e222b, v139
	v_mul_f32_e32 v138, 0xbf52af12, v134
	v_fma_f32 v76, 0x3df6dbef, v141, -v76
	v_fmac_f32_e32 v139, 0x3f7e222b, v66
	v_add_f32_e32 v68, v68, v78
	v_add_f32_e32 v78, v137, v81
	v_fmamk_f32 v81, v141, 0x3f116cb1, v138
	v_dual_mul_f32 v137, 0x3f116cb1, v67 :: v_dual_add_f32 v76, v76, v77
	v_add_f32_e32 v77, v139, v83
	v_mul_f32_e32 v83, 0x3e750f2a, v134
	s_delay_alu instid0(VALU_DEP_3) | instskip(SKIP_2) | instid1(VALU_DEP_3)
	v_dual_add_f32 v81, v81, v82 :: v_dual_fmamk_f32 v82, v66, 0x3f52af12, v137
	v_fma_f32 v138, 0x3f116cb1, v141, -v138
	v_fmac_f32_e32 v137, 0xbf52af12, v66
	v_dual_fmamk_f32 v139, v141, 0xbf788fa5, v83 :: v_dual_add_f32 v82, v82, v130
	s_delay_alu instid0(VALU_DEP_3) | instskip(NEXT) | instid1(VALU_DEP_3)
	v_add_f32_e32 v130, v138, v131
	v_add_f32_e32 v128, v137, v128
	s_delay_alu instid0(VALU_DEP_3) | instskip(SKIP_3) | instid1(VALU_DEP_4)
	v_dual_add_f32 v131, v139, v132 :: v_dual_fmamk_f32 v132, v66, 0xbe750f2a, v140
	v_fma_f32 v83, 0xbf788fa5, v141, -v83
	v_fmac_f32_e32 v140, 0x3e750f2a, v66
	v_mul_f32_e32 v138, 0x3f62ad3f, v67
	v_dual_mul_f32 v137, 0x3eedf032, v134 :: v_dual_add_f32 v132, v132, v133
	s_delay_alu instid0(VALU_DEP_4) | instskip(NEXT) | instid1(VALU_DEP_3)
	v_add_f32_e32 v83, v83, v129
	v_fmamk_f32 v129, v66, 0xbeedf032, v138
	s_delay_alu instid0(VALU_DEP_3) | instskip(NEXT) | instid1(VALU_DEP_2)
	v_fmamk_f32 v133, v141, 0x3f62ad3f, v137
	v_dual_fmac_f32 v138, 0x3eedf032, v66 :: v_dual_add_f32 v129, v129, v135
	v_sub_f32_e32 v135, v61, v63
	v_add_f32_e32 v139, v140, v70
	v_mul_f32_e32 v70, 0xbf6f5d39, v134
	s_delay_alu instid0(VALU_DEP_4) | instskip(SKIP_2) | instid1(VALU_DEP_4)
	v_add_f32_e32 v126, v138, v126
	v_dual_add_f32 v138, v63, v61 :: v_dual_add_f32 v133, v133, v71
	v_fma_f32 v71, 0x3f62ad3f, v141, -v137
	v_dual_fmamk_f32 v134, v141, 0xbeb58ec6, v70 :: v_dual_mul_f32 v67, 0xbeb58ec6, v67
	v_dual_mul_f32 v137, 0xbe750f2a, v135 :: v_dual_sub_f32 v140, v60, v62
	s_delay_alu instid0(VALU_DEP_2) | instskip(NEXT) | instid1(VALU_DEP_3)
	v_dual_add_f32 v125, v71, v125 :: v_dual_add_f32 v134, v134, v136
	v_fmamk_f32 v71, v66, 0x3f6f5d39, v67
	v_dual_add_f32 v136, v62, v60 :: v_dual_fmac_f32 v67, 0xbf6f5d39, v66
	v_fma_f32 v61, 0xbeb58ec6, v141, -v70
	v_mul_f32_e32 v62, 0xbf788fa5, v138
	v_mul_f32_e32 v70, 0xbf29c268, v135
	s_delay_alu instid0(VALU_DEP_4) | instskip(SKIP_3) | instid1(VALU_DEP_4)
	v_fmamk_f32 v60, v136, 0xbf788fa5, v137
	v_add_f32_e32 v142, v67, v75
	v_mul_f32_e32 v63, 0x3eedf032, v135
	v_add_f32_e32 v141, v61, v69
	v_dual_add_f32 v127, v71, v127 :: v_dual_add_f32 v60, v60, v48
	v_fmamk_f32 v48, v140, 0x3e750f2a, v62
	v_fmac_f32_e32 v62, 0xbe750f2a, v140
	v_fmamk_f32 v69, v136, 0x3f62ad3f, v63
	v_fma_f32 v66, 0xbf788fa5, v136, -v137
	v_mul_f32_e32 v71, 0xbf3f9e67, v138
	v_add_f32_e32 v61, v48, v49
	v_add_f32_e32 v49, v62, v80
	v_dual_add_f32 v62, v69, v68 :: v_dual_fmamk_f32 v69, v136, 0xbf3f9e67, v70
	v_fma_f32 v70, 0xbf3f9e67, v136, -v70
	v_add_f32_e32 v48, v66, v79
	v_fma_f32 v68, 0x3f62ad3f, v136, -v63
	s_delay_alu instid0(VALU_DEP_3) | instskip(SKIP_2) | instid1(VALU_DEP_1)
	v_add_f32_e32 v70, v70, v130
	v_mul_f32_e32 v130, 0x3df6dbef, v138
	v_mul_f32_e32 v67, 0x3f62ad3f, v138
	v_fmamk_f32 v66, v140, 0xbeedf032, v67
	v_fmac_f32_e32 v67, 0x3eedf032, v140
	s_delay_alu instid0(VALU_DEP_2) | instskip(SKIP_2) | instid1(VALU_DEP_4)
	v_dual_add_f32 v63, v66, v78 :: v_dual_add_f32 v66, v68, v76
	v_mul_f32_e32 v76, 0x3f52af12, v135
	v_dual_add_f32 v68, v69, v81 :: v_dual_fmamk_f32 v69, v140, 0x3f29c268, v71
	v_dual_mul_f32 v78, 0x3f116cb1, v138 :: v_dual_add_f32 v67, v67, v77
	s_delay_alu instid0(VALU_DEP_3) | instskip(SKIP_1) | instid1(VALU_DEP_4)
	v_fma_f32 v80, 0x3f116cb1, v136, -v76
	v_fmac_f32_e32 v71, 0xbf29c268, v140
	v_add_f32_e32 v69, v69, v82
	s_delay_alu instid0(VALU_DEP_4)
	v_fmamk_f32 v77, v140, 0xbf52af12, v78
	v_mul_f32_e32 v82, 0xbeb58ec6, v138
	v_fmamk_f32 v75, v136, 0x3f116cb1, v76
	v_add_f32_e32 v71, v71, v128
	v_fmac_f32_e32 v78, 0x3f52af12, v140
	v_dual_add_f32 v76, v77, v132 :: v_dual_add_f32 v77, v80, v83
	v_fmamk_f32 v80, v140, 0x3f6f5d39, v82
	v_mul_f32_e32 v79, 0xbf6f5d39, v135
	v_mul_f32_e32 v128, 0x3f7e222b, v135
	v_add_f32_e32 v78, v78, v139
	v_fmac_f32_e32 v82, 0xbf6f5d39, v140
	v_add_f32_e32 v80, v80, v129
	v_fmamk_f32 v81, v136, 0xbeb58ec6, v79
	v_fma_f32 v83, 0xbeb58ec6, v136, -v79
	v_fmamk_f32 v129, v140, 0xbf7e222b, v130
	v_dual_fmac_f32 v130, 0x3f7e222b, v140 :: v_dual_add_f32 v75, v75, v131
	s_delay_alu instid0(VALU_DEP_4) | instskip(NEXT) | instid1(VALU_DEP_4)
	v_add_f32_e32 v79, v81, v133
	v_add_f32_e32 v81, v83, v125
	v_fmamk_f32 v83, v136, 0x3df6dbef, v128
	v_fma_f32 v128, 0x3df6dbef, v136, -v128
	v_add_f32_e32 v82, v82, v126
	s_delay_alu instid0(VALU_DEP_3) | instskip(NEXT) | instid1(VALU_DEP_3)
	v_dual_add_f32 v126, v129, v127 :: v_dual_add_f32 v125, v83, v134
	v_dual_add_f32 v127, v128, v141 :: v_dual_add_f32 v128, v130, v142
	ds_store_2addr_b64 v72, v[64:65], v[60:61] offset1:1
	ds_store_2addr_b64 v72, v[62:63], v[68:69] offset0:2 offset1:3
	ds_store_2addr_b64 v72, v[75:76], v[79:80] offset0:4 offset1:5
	;; [unrolled: 1-line block ×5, first 2 shown]
	ds_store_b64 v72, v[48:49] offset:96
	global_wb scope:SCOPE_SE
	s_wait_dscnt 0x0
	s_barrier_signal -1
	s_barrier_wait -1
	global_inv scope:SCOPE_SE
	ds_load_2addr_b64 v[60:63], v118 offset1:78
	ds_load_2addr_b64 v[80:83], v118 offset0:169 offset1:247
	ds_load_2addr_b64 v[76:79], v74 offset0:82 offset1:160
	;; [unrolled: 1-line block ×5, first 2 shown]
	s_and_saveexec_b32 s2, vcc_lo
	s_cbranch_execz .LBB0_7
; %bb.6:
	v_add_nc_u32_e32 v48, 0x400, v118
	v_add_nc_u32_e32 v52, 0xe00, v118
	ds_load_2addr_b64 v[48:51], v48 offset0:28 offset1:197
	ds_load_2addr_b64 v[52:55], v52 offset0:46 offset1:215
	;; [unrolled: 1-line block ×3, first 2 shown]
.LBB0_7:
	s_wait_alu 0xfffe
	s_or_b32 exec_lo, exec_lo, s2
	s_wait_dscnt 0x3
	v_mul_f32_e32 v124, v23, v77
	v_mul_f32_e32 v123, v21, v81
	;; [unrolled: 1-line block ×4, first 2 shown]
	global_wb scope:SCOPE_SE
	s_wait_dscnt 0x0
	v_fmac_f32_e32 v124, v22, v76
	v_fmac_f32_e32 v123, v20, v80
	v_fma_f32 v20, v20, v81, -v21
	v_mul_f32_e32 v21, v17, v73
	v_mul_f32_e32 v17, v17, v72
	v_fma_f32 v22, v22, v77, -v23
	v_mul_f32_e32 v23, v19, v69
	v_mul_f32_e32 v19, v19, v68
	s_barrier_signal -1
	s_barrier_wait -1
	global_inv scope:SCOPE_SE
	v_fmac_f32_e32 v23, v18, v68
	v_mul_f32_e32 v68, v116, v64
	v_fmac_f32_e32 v21, v16, v72
	v_fma_f32 v16, v16, v73, -v17
	v_fma_f32 v18, v18, v69, -v19
	v_mul_f32_e32 v73, v11, v71
	v_mul_f32_e32 v11, v11, v70
	;; [unrolled: 1-line block ×3, first 2 shown]
	v_fma_f32 v19, v115, v65, -v68
	s_delay_alu instid0(VALU_DEP_4) | instskip(NEXT) | instid1(VALU_DEP_4)
	v_dual_mul_f32 v68, v9, v75 :: v_dual_fmac_f32 v73, v10, v70
	v_fma_f32 v70, v10, v71, -v11
	v_add_f32_e32 v10, v60, v124
	v_mul_f32_e32 v17, v116, v65
	v_mul_f32_e32 v9, v9, v74
	v_fmac_f32_e32 v68, v8, v74
	v_add_f32_e32 v11, v20, v16
	s_delay_alu instid0(VALU_DEP_4)
	v_fmac_f32_e32 v17, v115, v64
	v_mul_f32_e32 v64, v15, v79
	v_mul_f32_e32 v15, v15, v78
	v_fma_f32 v74, v8, v75, -v9
	v_mul_f32_e32 v75, v114, v67
	v_mul_f32_e32 v8, v114, v66
	v_fmac_f32_e32 v64, v14, v78
	v_fma_f32 v72, v14, v79, -v15
	v_add_f32_e32 v14, v10, v23
	v_dual_add_f32 v10, v61, v22 :: v_dual_add_f32 v9, v124, v23
	v_fmac_f32_e32 v75, v113, v66
	v_fma_f32 v66, v113, v67, -v8
	v_add_f32_e32 v8, v22, v18
	s_delay_alu instid0(VALU_DEP_4) | instskip(SKIP_2) | instid1(VALU_DEP_4)
	v_fma_f32 v15, -0.5, v9, v60
	v_sub_f32_e32 v9, v22, v18
	v_add_f32_e32 v60, v10, v18
	v_fma_f32 v22, -0.5, v8, v61
	v_sub_f32_e32 v8, v124, v23
	v_dual_fmac_f32 v69, v12, v82 :: v_dual_add_f32 v10, v21, v17
	v_fmamk_f32 v23, v9, 0xbf5db3d7, v15
	v_fmac_f32_e32 v15, 0x3f5db3d7, v9
	v_add_f32_e32 v9, v16, v19
	v_mul_f32_e32 v13, v13, v82
	v_fmamk_f32 v61, v8, 0x3f5db3d7, v22
	v_fmac_f32_e32 v22, 0xbf5db3d7, v8
	s_delay_alu instid0(VALU_DEP_4) | instskip(NEXT) | instid1(VALU_DEP_4)
	v_fmac_f32_e32 v20, -0.5, v9
	v_fma_f32 v65, v12, v83, -v13
	v_dual_add_f32 v12, v123, v21 :: v_dual_fmac_f32 v123, -0.5, v10
	v_sub_f32_e32 v10, v16, v19
	s_delay_alu instid0(VALU_DEP_2) | instskip(SKIP_1) | instid1(VALU_DEP_1)
	v_add_f32_e32 v16, v12, v17
	v_sub_f32_e32 v9, v21, v17
	v_fmamk_f32 v8, v9, 0x3f5db3d7, v20
	s_delay_alu instid0(VALU_DEP_1)
	v_mul_f32_e32 v17, 0xbf5db3d7, v8
	v_mul_f32_e32 v21, 0.5, v8
	v_add_f32_e32 v8, v14, v16
	v_sub_f32_e32 v14, v14, v16
	v_dual_fmac_f32 v20, 0xbf5db3d7, v9 :: v_dual_fmamk_f32 v9, v10, 0xbf5db3d7, v123
	v_fmac_f32_e32 v123, 0x3f5db3d7, v10
	s_delay_alu instid0(VALU_DEP_2) | instskip(SKIP_1) | instid1(VALU_DEP_2)
	v_mul_f32_e32 v18, 0xbf5db3d7, v20
	v_mul_f32_e32 v20, -0.5, v20
	v_fmac_f32_e32 v18, -0.5, v123
	s_delay_alu instid0(VALU_DEP_2) | instskip(SKIP_1) | instid1(VALU_DEP_3)
	v_fmac_f32_e32 v20, 0x3f5db3d7, v123
	v_add_f32_e32 v19, v11, v19
	v_add_f32_e32 v12, v15, v18
	v_dual_sub_f32 v18, v15, v18 :: v_dual_fmac_f32 v17, 0.5, v9
	v_fmac_f32_e32 v21, 0x3f5db3d7, v9
	s_delay_alu instid0(VALU_DEP_2) | instskip(NEXT) | instid1(VALU_DEP_2)
	v_dual_sub_f32 v15, v60, v19 :: v_dual_add_f32 v10, v23, v17
	v_add_f32_e32 v11, v61, v21
	v_sub_f32_e32 v16, v23, v17
	v_add_f32_e32 v23, v64, v73
	v_sub_f32_e32 v17, v61, v21
	v_add_f32_e32 v21, v62, v64
	s_delay_alu instid0(VALU_DEP_3) | instskip(NEXT) | instid1(VALU_DEP_2)
	v_fma_f32 v62, -0.5, v23, v62
	v_add_f32_e32 v67, v21, v73
	v_add_f32_e32 v21, v63, v72
	;; [unrolled: 1-line block ×3, first 2 shown]
	v_sub_f32_e32 v19, v22, v20
	v_add_f32_e32 v60, v69, v68
	v_dual_add_f32 v13, v22, v20 :: v_dual_add_f32 v20, v72, v70
	s_delay_alu instid0(VALU_DEP_1) | instskip(SKIP_1) | instid1(VALU_DEP_2)
	v_dual_sub_f32 v22, v72, v70 :: v_dual_fmac_f32 v63, -0.5, v20
	v_sub_f32_e32 v20, v64, v73
	v_dual_add_f32 v64, v60, v75 :: v_dual_fmamk_f32 v71, v22, 0xbf5db3d7, v62
	v_fmac_f32_e32 v62, 0x3f5db3d7, v22
	v_add_f32_e32 v22, v74, v66
	s_delay_alu instid0(VALU_DEP_4) | instskip(SKIP_1) | instid1(VALU_DEP_3)
	v_dual_add_f32 v23, v65, v74 :: v_dual_fmamk_f32 v72, v20, 0x3f5db3d7, v63
	v_fmac_f32_e32 v63, 0xbf5db3d7, v20
	v_dual_fmac_f32 v65, -0.5, v22 :: v_dual_sub_f32 v22, v68, v75
	s_delay_alu instid0(VALU_DEP_1) | instskip(SKIP_1) | instid1(VALU_DEP_1)
	v_fmamk_f32 v20, v22, 0x3f5db3d7, v65
	v_fmac_f32_e32 v65, 0xbf5db3d7, v22
	v_mul_f32_e32 v76, -0.5, v65
	v_dual_add_f32 v70, v21, v70 :: v_dual_add_f32 v21, v68, v75
	s_delay_alu instid0(VALU_DEP_4) | instskip(SKIP_1) | instid1(VALU_DEP_3)
	v_dual_mul_f32 v73, 0xbf5db3d7, v65 :: v_dual_mul_f32 v68, 0xbf5db3d7, v20
	v_mul_f32_e32 v75, 0.5, v20
	v_fmac_f32_e32 v69, -0.5, v21
	v_sub_f32_e32 v21, v74, v66
	s_delay_alu instid0(VALU_DEP_1) | instskip(NEXT) | instid1(VALU_DEP_1)
	v_fmamk_f32 v22, v21, 0xbf5db3d7, v69
	v_dual_fmac_f32 v69, 0x3f5db3d7, v21 :: v_dual_fmac_f32 v68, 0.5, v22
	s_delay_alu instid0(VALU_DEP_1) | instskip(SKIP_2) | instid1(VALU_DEP_4)
	v_fmac_f32_e32 v73, -0.5, v69
	v_dual_fmac_f32 v75, 0x3f5db3d7, v22 :: v_dual_fmac_f32 v76, 0x3f5db3d7, v69
	v_add_f32_e32 v20, v67, v64
	v_add_f32_e32 v22, v71, v68
	s_delay_alu instid0(VALU_DEP_4) | instskip(SKIP_4) | instid1(VALU_DEP_4)
	v_add_f32_e32 v60, v62, v73
	v_add_f32_e32 v74, v23, v66
	v_dual_sub_f32 v66, v71, v68 :: v_dual_add_f32 v23, v72, v75
	v_sub_f32_e32 v64, v67, v64
	v_sub_f32_e32 v62, v62, v73
	v_add_f32_e32 v21, v70, v74
	v_add_f32_e32 v61, v63, v76
	v_sub_f32_e32 v65, v70, v74
	v_sub_f32_e32 v67, v72, v75
	;; [unrolled: 1-line block ×3, first 2 shown]
	ds_store_2addr_b64 v122, v[8:9], v[10:11] offset1:13
	ds_store_2addr_b64 v122, v[12:13], v[14:15] offset0:26 offset1:39
	ds_store_2addr_b64 v122, v[16:17], v[18:19] offset0:52 offset1:65
	ds_store_2addr_b64 v121, v[20:21], v[22:23] offset1:13
	ds_store_2addr_b64 v121, v[60:61], v[64:65] offset0:26 offset1:39
	ds_store_2addr_b64 v121, v[66:67], v[62:63] offset0:52 offset1:65
	s_and_saveexec_b32 s2, vcc_lo
	s_cbranch_execz .LBB0_9
; %bb.8:
	v_mul_f32_e32 v8, v7, v52
	v_dual_mul_f32 v9, v3, v56 :: v_dual_mul_f32 v10, v1, v55
	v_dual_mul_f32 v1, v1, v54 :: v_dual_mul_f32 v12, v112, v59
	v_mul_f32_e32 v13, v5, v50
	s_delay_alu instid0(VALU_DEP_4) | instskip(NEXT) | instid1(VALU_DEP_4)
	v_fma_f32 v8, v6, v53, -v8
	v_fma_f32 v9, v2, v57, -v9
	v_mul_f32_e32 v11, v112, v58
	v_fma_f32 v14, v0, v55, -v1
	v_dual_mul_f32 v5, v5, v51 :: v_dual_fmac_f32 v10, v0, v54
	s_delay_alu instid0(VALU_DEP_4) | instskip(NEXT) | instid1(VALU_DEP_4)
	v_dual_add_f32 v1, v8, v9 :: v_dual_fmac_f32 v12, v111, v58
	v_fma_f32 v11, v111, v59, -v11
	v_mul_f32_e32 v15, v3, v57
	s_delay_alu instid0(VALU_DEP_4) | instskip(NEXT) | instid1(VALU_DEP_4)
	v_fmac_f32_e32 v5, v4, v50
	v_fma_f32 v16, -0.5, v1, v49
	v_add_f32_e32 v3, v10, v12
	v_fma_f32 v0, v4, v51, -v13
	v_add_f32_e32 v13, v14, v11
	v_fmac_f32_e32 v15, v2, v56
	v_add_f32_e32 v20, v49, v8
	v_sub_f32_e32 v8, v8, v9
	v_fma_f32 v2, -0.5, v3, v5
	v_sub_f32_e32 v3, v14, v11
	v_mul_f32_e32 v7, v7, v53
	v_fma_f32 v4, -0.5, v13, v0
	v_dual_sub_f32 v13, v10, v12 :: v_dual_add_f32 v0, v0, v14
	s_delay_alu instid0(VALU_DEP_3) | instskip(NEXT) | instid1(VALU_DEP_2)
	v_dual_add_f32 v14, v20, v9 :: v_dual_fmac_f32 v7, v6, v52
	v_fmamk_f32 v6, v13, 0xbf5db3d7, v4
	v_fmac_f32_e32 v4, 0x3f5db3d7, v13
	v_fmamk_f32 v13, v3, 0x3f5db3d7, v2
	s_delay_alu instid0(VALU_DEP_4) | instskip(SKIP_3) | instid1(VALU_DEP_4)
	v_add_f32_e32 v21, v7, v15
	v_sub_f32_e32 v1, v7, v15
	v_add_f32_e32 v11, v0, v11
	v_dual_add_f32 v0, v48, v7 :: v_dual_mul_f32 v17, -0.5, v6
	v_fma_f32 v20, -0.5, v21, v48
	v_mul_f32_e32 v6, 0xbf5db3d7, v6
	v_fmac_f32_e32 v2, 0xbf5db3d7, v3
	v_dual_mul_f32 v18, 0.5, v4 :: v_dual_fmamk_f32 v19, v1, 0xbf5db3d7, v16
	s_delay_alu instid0(VALU_DEP_4) | instskip(NEXT) | instid1(VALU_DEP_4)
	v_fmamk_f32 v21, v8, 0x3f5db3d7, v20
	v_fmac_f32_e32 v6, -0.5, v13
	v_dual_fmac_f32 v20, 0xbf5db3d7, v8 :: v_dual_add_f32 v5, v5, v10
	v_fmac_f32_e32 v17, 0x3f5db3d7, v13
	v_mul_f32_e32 v13, 0xbf5db3d7, v4
	v_fmac_f32_e32 v16, 0x3f5db3d7, v1
	v_fmac_f32_e32 v18, 0x3f5db3d7, v2
	v_add_f32_e32 v10, v0, v15
	v_sub_f32_e32 v0, v21, v6
	v_add_f32_e32 v6, v21, v6
	v_fmac_f32_e32 v13, 0.5, v2
	v_lshl_add_u32 v2, v120, 3, v119
	v_add_f32_e32 v9, v16, v18
	s_delay_alu instid0(VALU_DEP_3) | instskip(SKIP_2) | instid1(VALU_DEP_2)
	v_add_f32_e32 v8, v20, v13
	v_dual_add_f32 v12, v5, v12 :: v_dual_sub_f32 v3, v16, v18
	v_sub_f32_e32 v1, v19, v17
	v_dual_add_f32 v7, v19, v17 :: v_dual_sub_f32 v4, v10, v12
	v_add_f32_e32 v10, v10, v12
	v_dual_sub_f32 v5, v14, v11 :: v_dual_add_nc_u32 v12, 0x1800, v2
	v_dual_add_f32 v11, v14, v11 :: v_dual_sub_f32 v2, v20, v13
	ds_store_2addr_b64 v12, v[10:11], v[8:9] offset0:168 offset1:181
	ds_store_2addr_b64 v12, v[6:7], v[4:5] offset0:194 offset1:207
	;; [unrolled: 1-line block ×3, first 2 shown]
.LBB0_9:
	s_wait_alu 0xfffe
	s_or_b32 exec_lo, exec_lo, s2
	global_wb scope:SCOPE_SE
	s_wait_dscnt 0x0
	s_barrier_signal -1
	s_barrier_wait -1
	global_inv scope:SCOPE_SE
	ds_load_2addr_b64 v[12:15], v118 offset1:78
	ds_load_2addr_b64 v[6:9], v118 offset0:156 offset1:234
	v_add_nc_u32_e32 v5, 0x800, v118
	v_add_nc_u32_e32 v4, 0xc00, v118
	;; [unrolled: 1-line block ×3, first 2 shown]
	s_mov_b32 s2, 0xfc7729e9
	s_mov_b32 s3, 0x3f502864
	s_wait_dscnt 0x1
	v_mul_f32_e32 v56, v45, v15
	ds_load_2addr_b64 v[16:19], v5 offset0:56 offset1:134
	s_wait_dscnt 0x1
	v_dual_mul_f32 v10, v45, v14 :: v_dual_mul_f32 v45, v47, v7
	v_mul_f32_e32 v11, v47, v6
	v_mul_f32_e32 v47, v41, v9
	v_add_nc_u32_e32 v3, 0x1000, v118
	v_dual_mul_f32 v41, v41, v8 :: v_dual_fmac_f32 v56, v44, v14
	v_fmac_f32_e32 v45, v46, v6
	s_delay_alu instid0(VALU_DEP_4) | instskip(SKIP_1) | instid1(VALU_DEP_4)
	v_fmac_f32_e32 v47, v40, v8
	v_fma_f32 v14, v44, v15, -v10
	v_fma_f32 v40, v40, v9, -v41
	v_add_f32_e32 v9, v12, v56
	s_wait_dscnt 0x0
	v_mul_f32_e32 v6, v43, v16
	v_mul_f32_e32 v44, v43, v17
	ds_load_b64 v[0:1], v118 offset:7488
	ds_load_2addr_b64 v[20:23], v4 offset0:84 offset1:162
	ds_load_2addr_b64 v[48:51], v3 offset0:112 offset1:190
	;; [unrolled: 1-line block ×3, first 2 shown]
	v_mul_f32_e32 v10, v33, v19
	v_fma_f32 v15, v46, v7, -v11
	v_dual_mul_f32 v7, v33, v18 :: v_dual_fmac_f32 v44, v42, v16
	v_fma_f32 v16, v42, v17, -v6
	s_delay_alu instid0(VALU_DEP_4) | instskip(SKIP_1) | instid1(VALU_DEP_4)
	v_fmac_f32_e32 v10, v32, v18
	v_add_f32_e32 v17, v13, v14
	v_fma_f32 v11, v32, v19, -v7
	v_add_f32_e32 v9, v9, v45
	s_wait_dscnt 0x2
	s_delay_alu instid0(VALU_DEP_3) | instskip(SKIP_3) | instid1(VALU_DEP_2)
	v_dual_add_f32 v17, v17, v15 :: v_dual_mul_f32 v6, v35, v21
	v_dual_mul_f32 v7, v25, v23 :: v_dual_mul_f32 v8, v35, v20
	s_wait_dscnt 0x1
	v_dual_mul_f32 v18, v25, v22 :: v_dual_mul_f32 v19, v27, v49
	v_dual_fmac_f32 v6, v34, v20 :: v_dual_fmac_f32 v7, v24, v22
	v_add_f32_e32 v20, v9, v47
	v_fma_f32 v8, v34, v21, -v8
	s_delay_alu instid0(VALU_DEP_4) | instskip(SKIP_1) | instid1(VALU_DEP_4)
	v_fma_f32 v9, v24, v23, -v18
	v_dual_mul_f32 v18, v27, v48 :: v_dual_mul_f32 v21, v37, v51
	v_add_f32_e32 v20, v20, v44
	v_add_f32_e32 v17, v17, v40
	v_dual_fmac_f32 v19, v26, v48 :: v_dual_mul_f32 v22, v37, v50
	s_delay_alu instid0(VALU_DEP_4) | instskip(NEXT) | instid1(VALU_DEP_3)
	v_fma_f32 v18, v26, v49, -v18
	v_dual_add_f32 v20, v20, v10 :: v_dual_add_f32 v17, v17, v16
	v_dual_fmac_f32 v21, v36, v50 :: v_dual_mul_f32 v26, v31, v0
	s_wait_dscnt 0x0
	v_mul_f32_e32 v24, v39, v52
	s_delay_alu instid0(VALU_DEP_3) | instskip(SKIP_3) | instid1(VALU_DEP_4)
	v_dual_add_f32 v20, v20, v6 :: v_dual_add_f32 v17, v17, v11
	v_mul_f32_e32 v23, v39, v53
	v_mul_f32_e32 v27, v31, v1
	v_fma_f32 v1, v30, v1, -v26
	v_dual_add_f32 v20, v20, v7 :: v_dual_add_f32 v17, v17, v8
	s_delay_alu instid0(VALU_DEP_4) | instskip(SKIP_1) | instid1(VALU_DEP_3)
	v_dual_fmac_f32 v23, v38, v52 :: v_dual_mul_f32 v26, v29, v54
	v_fma_f32 v22, v36, v51, -v22
	v_add_f32_e32 v20, v20, v19
	v_mul_f32_e32 v25, v29, v55
	v_sub_f32_e32 v29, v14, v1
	v_fma_f32 v26, v28, v55, -v26
	v_add_f32_e32 v14, v14, v1
	v_add_f32_e32 v20, v20, v21
	;; [unrolled: 1-line block ×3, first 2 shown]
	v_fma_f32 v24, v38, v53, -v24
	v_sub_f32_e32 v53, v15, v26
	v_dual_mul_f32 v32, 0x3f62ad3f, v14 :: v_dual_fmac_f32 v27, v30, v0
	s_delay_alu instid0(VALU_DEP_4) | instskip(NEXT) | instid1(VALU_DEP_2)
	v_dual_add_f32 v0, v20, v23 :: v_dual_add_f32 v17, v17, v18
	v_dual_add_f32 v15, v15, v26 :: v_dual_add_f32 v20, v56, v27
	v_sub_f32_e32 v30, v56, v27
	v_dual_fmac_f32 v25, v28, v54 :: v_dual_mul_f32 v28, 0xbeedf032, v29
	s_delay_alu instid0(VALU_DEP_4) | instskip(SKIP_1) | instid1(VALU_DEP_3)
	v_dual_add_f32 v17, v17, v22 :: v_dual_mul_f32 v48, 0xbf29c268, v29
	v_mul_f32_e32 v36, 0xbf7e222b, v29
	v_add_f32_e32 v0, v0, v25
	s_delay_alu instid0(VALU_DEP_3) | instskip(NEXT) | instid1(VALU_DEP_4)
	v_dual_mul_f32 v56, 0xbf52af12, v53 :: v_dual_add_f32 v17, v17, v24
	v_fmamk_f32 v50, v20, 0xbf3f9e67, v48
	s_delay_alu instid0(VALU_DEP_3) | instskip(SKIP_1) | instid1(VALU_DEP_4)
	v_dual_mul_f32 v39, 0xbf6f5d39, v29 :: v_dual_add_f32 v0, v0, v27
	v_fmamk_f32 v27, v30, 0x3eedf032, v32
	v_add_f32_e32 v17, v17, v26
	v_fmac_f32_e32 v32, 0xbeedf032, v30
	v_fmamk_f32 v31, v20, 0x3f62ad3f, v28
	v_fma_f32 v28, 0x3f62ad3f, v20, -v28
	s_delay_alu instid0(VALU_DEP_4) | instskip(NEXT) | instid1(VALU_DEP_3)
	v_dual_mul_f32 v38, 0x3df6dbef, v14 :: v_dual_add_f32 v1, v17, v1
	v_dual_add_f32 v32, v13, v32 :: v_dual_add_f32 v17, v12, v31
	s_delay_alu instid0(VALU_DEP_3) | instskip(SKIP_3) | instid1(VALU_DEP_4)
	v_dual_mul_f32 v31, 0xbf52af12, v29 :: v_dual_add_f32 v28, v12, v28
	v_add_f32_e32 v27, v13, v27
	v_mul_f32_e32 v49, 0xbf3f9e67, v14
	v_mul_f32_e32 v29, 0xbe750f2a, v29
	v_fmamk_f32 v34, v20, 0x3f116cb1, v31
	v_mul_f32_e32 v43, 0xbeb58ec6, v14
	v_add_f32_e32 v50, v12, v50
	v_fmamk_f32 v42, v20, 0xbeb58ec6, v39
	v_fmamk_f32 v52, v20, 0xbf788fa5, v29
	v_dual_fmamk_f32 v41, v30, 0x3f7e222b, v38 :: v_dual_add_f32 v34, v12, v34
	v_fma_f32 v31, 0x3f116cb1, v20, -v31
	v_fmamk_f32 v46, v30, 0x3f6f5d39, v43
	s_delay_alu instid0(VALU_DEP_4)
	v_add_f32_e32 v52, v12, v52
	v_fmamk_f32 v37, v20, 0x3df6dbef, v36
	v_fma_f32 v36, 0x3df6dbef, v20, -v36
	v_mul_f32_e32 v33, 0x3f116cb1, v14
	v_add_f32_e32 v41, v13, v41
	v_dual_add_f32 v31, v12, v31 :: v_dual_fmac_f32 v38, 0xbf7e222b, v30
	s_delay_alu instid0(VALU_DEP_3) | instskip(SKIP_2) | instid1(VALU_DEP_4)
	v_dual_add_f32 v36, v12, v36 :: v_dual_fmamk_f32 v35, v30, 0x3f52af12, v33
	v_fma_f32 v39, 0xbeb58ec6, v20, -v39
	v_add_f32_e32 v55, v45, v25
	v_add_f32_e32 v38, v13, v38
	s_delay_alu instid0(VALU_DEP_4) | instskip(NEXT) | instid1(VALU_DEP_4)
	v_dual_add_f32 v42, v12, v42 :: v_dual_add_f32 v35, v13, v35
	v_add_f32_e32 v39, v12, v39
	v_fma_f32 v48, 0xbf3f9e67, v20, -v48
	v_fmac_f32_e32 v33, 0xbf52af12, v30
	v_fma_f32 v20, 0xbf788fa5, v20, -v29
	v_dual_add_f32 v46, v13, v46 :: v_dual_add_f32 v37, v12, v37
	v_mul_f32_e32 v14, 0xbf788fa5, v14
	s_delay_alu instid0(VALU_DEP_4) | instskip(SKIP_2) | instid1(VALU_DEP_4)
	v_dual_add_f32 v48, v12, v48 :: v_dual_add_f32 v33, v13, v33
	v_dual_sub_f32 v25, v45, v25 :: v_dual_fmamk_f32 v26, v55, 0x3f116cb1, v56
	v_dual_add_f32 v12, v12, v20 :: v_dual_fmac_f32 v43, 0xbf6f5d39, v30
	v_fmamk_f32 v54, v30, 0x3e750f2a, v14
	v_fmamk_f32 v51, v30, 0x3f29c268, v49
	v_fmac_f32_e32 v49, 0xbf29c268, v30
	s_delay_alu instid0(VALU_DEP_4) | instskip(NEXT) | instid1(VALU_DEP_4)
	v_dual_fmac_f32 v14, 0xbe750f2a, v30 :: v_dual_add_f32 v43, v13, v43
	v_dual_mul_f32 v29, 0x3f116cb1, v15 :: v_dual_add_f32 v30, v13, v54
	s_delay_alu instid0(VALU_DEP_4) | instskip(NEXT) | instid1(VALU_DEP_4)
	v_dual_add_f32 v51, v13, v51 :: v_dual_mul_f32 v20, 0xbf6f5d39, v53
	v_add_f32_e32 v49, v13, v49
	s_delay_alu instid0(VALU_DEP_4) | instskip(NEXT) | instid1(VALU_DEP_4)
	v_dual_add_f32 v13, v13, v14 :: v_dual_add_f32 v14, v26, v17
	v_fmamk_f32 v17, v25, 0x3f52af12, v29
	v_mul_f32_e32 v54, 0xbf3f9e67, v15
	v_fmac_f32_e32 v29, 0xbf52af12, v25
	v_mul_f32_e32 v45, 0xbeb58ec6, v15
	s_delay_alu instid0(VALU_DEP_4) | instskip(SKIP_2) | instid1(VALU_DEP_1)
	v_add_f32_e32 v17, v17, v27
	v_fmamk_f32 v27, v55, 0xbeb58ec6, v20
	v_fma_f32 v20, 0xbeb58ec6, v55, -v20
	v_dual_add_f32 v27, v27, v34 :: v_dual_add_f32 v20, v20, v31
	v_fma_f32 v26, 0x3f116cb1, v55, -v56
	s_delay_alu instid0(VALU_DEP_1) | instskip(SKIP_3) | instid1(VALU_DEP_2)
	v_add_f32_e32 v26, v26, v28
	v_add_f32_e32 v28, v29, v32
	v_fmamk_f32 v29, v25, 0x3f6f5d39, v45
	v_fmac_f32_e32 v45, 0xbf6f5d39, v25
	v_dual_mul_f32 v32, 0xbe750f2a, v53 :: v_dual_add_f32 v29, v29, v35
	s_delay_alu instid0(VALU_DEP_2) | instskip(SKIP_1) | instid1(VALU_DEP_3)
	v_add_f32_e32 v31, v45, v33
	v_mul_f32_e32 v33, 0x3f29c268, v53
	v_fmamk_f32 v34, v55, 0xbf788fa5, v32
	v_fma_f32 v32, 0xbf788fa5, v55, -v32
	s_delay_alu instid0(VALU_DEP_3) | instskip(SKIP_1) | instid1(VALU_DEP_3)
	v_fmamk_f32 v45, v55, 0xbf3f9e67, v33
	v_fma_f32 v33, 0xbf3f9e67, v55, -v33
	v_add_f32_e32 v32, v32, v36
	v_add_f32_e32 v34, v34, v37
	s_delay_alu instid0(VALU_DEP_4) | instskip(SKIP_2) | instid1(VALU_DEP_2)
	v_add_f32_e32 v36, v45, v42
	v_mul_f32_e32 v42, 0x3df6dbef, v15
	v_add_f32_e32 v33, v33, v39
	v_fmamk_f32 v39, v25, 0xbf7e222b, v42
	v_fmac_f32_e32 v42, 0x3f7e222b, v25
	v_mul_f32_e32 v35, 0xbf788fa5, v15
	s_delay_alu instid0(VALU_DEP_2) | instskip(NEXT) | instid1(VALU_DEP_2)
	v_dual_mul_f32 v15, 0x3f62ad3f, v15 :: v_dual_add_f32 v42, v42, v49
	v_fmamk_f32 v37, v25, 0x3e750f2a, v35
	v_fmac_f32_e32 v35, 0xbe750f2a, v25
	s_delay_alu instid0(VALU_DEP_2) | instskip(NEXT) | instid1(VALU_DEP_2)
	v_add_f32_e32 v37, v37, v41
	v_dual_add_f32 v35, v35, v38 :: v_dual_fmamk_f32 v38, v25, 0xbf29c268, v54
	v_mul_f32_e32 v41, 0x3f7e222b, v53
	v_fmac_f32_e32 v54, 0x3f29c268, v25
	s_delay_alu instid0(VALU_DEP_2) | instskip(SKIP_2) | instid1(VALU_DEP_4)
	v_dual_add_f32 v38, v38, v46 :: v_dual_fmamk_f32 v45, v55, 0x3df6dbef, v41
	v_mul_f32_e32 v46, 0x3eedf032, v53
	v_fma_f32 v41, 0x3df6dbef, v55, -v41
	v_add_f32_e32 v43, v54, v43
	s_delay_alu instid0(VALU_DEP_3) | instskip(NEXT) | instid1(VALU_DEP_3)
	v_dual_add_f32 v45, v45, v50 :: v_dual_fmamk_f32 v50, v55, 0x3f62ad3f, v46
	v_add_f32_e32 v41, v41, v48
	v_sub_f32_e32 v48, v40, v24
	v_add_f32_e32 v24, v40, v24
	v_fma_f32 v40, 0x3f62ad3f, v55, -v46
	v_dual_add_f32 v49, v50, v52 :: v_dual_fmamk_f32 v50, v25, 0xbeedf032, v15
	s_delay_alu instid0(VALU_DEP_4) | instskip(SKIP_3) | instid1(VALU_DEP_3)
	v_dual_mul_f32 v52, 0xbf7e222b, v48 :: v_dual_add_f32 v39, v39, v51
	v_add_f32_e32 v51, v47, v23
	v_fmac_f32_e32 v15, 0x3eedf032, v25
	v_dual_sub_f32 v23, v47, v23 :: v_dual_mul_f32 v46, 0x3df6dbef, v24
	v_dual_add_f32 v12, v40, v12 :: v_dual_fmamk_f32 v25, v51, 0x3df6dbef, v52
	v_fma_f32 v40, 0x3df6dbef, v51, -v52
	v_dual_mul_f32 v47, 0xbf788fa5, v24 :: v_dual_add_f32 v30, v50, v30
	v_dual_mul_f32 v50, 0x3f62ad3f, v24 :: v_dual_add_f32 v13, v15, v13
	s_delay_alu instid0(VALU_DEP_4) | instskip(SKIP_4) | instid1(VALU_DEP_4)
	v_dual_add_f32 v14, v25, v14 :: v_dual_fmamk_f32 v15, v23, 0x3f7e222b, v46
	v_fmac_f32_e32 v46, 0xbf7e222b, v23
	v_add_f32_e32 v26, v40, v26
	v_fmamk_f32 v40, v23, 0x3e750f2a, v47
	v_mul_f32_e32 v25, 0xbe750f2a, v48
	v_dual_add_f32 v15, v15, v17 :: v_dual_add_f32 v28, v46, v28
	v_mul_f32_e32 v46, 0x3f6f5d39, v48
	v_fmac_f32_e32 v47, 0xbe750f2a, v23
	s_delay_alu instid0(VALU_DEP_4) | instskip(NEXT) | instid1(VALU_DEP_1)
	v_fmamk_f32 v17, v51, 0xbf788fa5, v25
	v_add_f32_e32 v17, v17, v27
	v_dual_add_f32 v27, v40, v29 :: v_dual_mul_f32 v40, 0xbeb58ec6, v24
	v_fmamk_f32 v29, v51, 0xbeb58ec6, v46
	v_fma_f32 v46, 0xbeb58ec6, v51, -v46
	s_delay_alu instid0(VALU_DEP_2) | instskip(SKIP_1) | instid1(VALU_DEP_3)
	v_dual_add_f32 v29, v29, v34 :: v_dual_fmamk_f32 v34, v23, 0xbf6f5d39, v40
	v_fmac_f32_e32 v40, 0x3f6f5d39, v23
	v_add_f32_e32 v32, v46, v32
	v_mul_f32_e32 v46, 0x3f116cb1, v24
	v_mul_f32_e32 v24, 0xbf3f9e67, v24
	s_delay_alu instid0(VALU_DEP_4) | instskip(SKIP_2) | instid1(VALU_DEP_2)
	v_dual_add_f32 v34, v34, v37 :: v_dual_add_f32 v35, v40, v35
	v_fmamk_f32 v37, v23, 0xbeedf032, v50
	v_mul_f32_e32 v40, 0xbf52af12, v48
	v_dual_fmac_f32 v50, 0x3eedf032, v23 :: v_dual_add_f32 v37, v37, v38
	s_delay_alu instid0(VALU_DEP_2) | instskip(SKIP_1) | instid1(VALU_DEP_2)
	v_fmamk_f32 v38, v51, 0x3f116cb1, v40
	v_fma_f32 v40, 0x3f116cb1, v51, -v40
	v_add_f32_e32 v38, v38, v45
	s_delay_alu instid0(VALU_DEP_2) | instskip(SKIP_4) | instid1(VALU_DEP_4)
	v_add_f32_e32 v40, v40, v41
	v_fma_f32 v25, 0xbf788fa5, v51, -v25
	v_sub_f32_e32 v41, v16, v22
	v_dual_add_f32 v16, v16, v22 :: v_dual_fmamk_f32 v45, v23, 0x3f29c268, v24
	v_fmac_f32_e32 v24, 0xbf29c268, v23
	v_dual_add_f32 v20, v25, v20 :: v_dual_add_f32 v25, v47, v31
	s_delay_alu instid0(VALU_DEP_3) | instskip(NEXT) | instid1(VALU_DEP_4)
	v_dual_mul_f32 v31, 0x3eedf032, v48 :: v_dual_add_f32 v30, v45, v30
	v_mul_f32_e32 v45, 0xbf3f9e67, v16
	s_delay_alu instid0(VALU_DEP_2) | instskip(SKIP_1) | instid1(VALU_DEP_2)
	v_fmamk_f32 v47, v51, 0x3f62ad3f, v31
	v_fma_f32 v31, 0x3f62ad3f, v51, -v31
	v_add_f32_e32 v36, v47, v36
	s_delay_alu instid0(VALU_DEP_2) | instskip(SKIP_2) | instid1(VALU_DEP_1)
	v_add_f32_e32 v31, v31, v33
	v_fmamk_f32 v33, v23, 0x3f52af12, v46
	v_dual_fmac_f32 v46, 0xbf52af12, v23 :: v_dual_add_f32 v13, v24, v13
	v_add_f32_e32 v42, v46, v42
	v_add_f32_e32 v46, v44, v21
	v_sub_f32_e32 v21, v44, v21
	v_mul_f32_e32 v47, 0xbf29c268, v48
	v_mul_f32_e32 v44, 0xbeb58ec6, v16
	s_delay_alu instid0(VALU_DEP_2) | instskip(NEXT) | instid1(VALU_DEP_1)
	v_fma_f32 v22, 0xbf3f9e67, v51, -v47
	v_add_f32_e32 v12, v22, v12
	s_delay_alu instid0(VALU_DEP_3) | instskip(NEXT) | instid1(VALU_DEP_1)
	v_fmamk_f32 v22, v21, 0x3f6f5d39, v44
	v_dual_mul_f32 v48, 0xbf6f5d39, v41 :: v_dual_add_f32 v15, v22, v15
	s_delay_alu instid0(VALU_DEP_1) | instskip(SKIP_2) | instid1(VALU_DEP_3)
	v_fmamk_f32 v23, v46, 0xbeb58ec6, v48
	v_add_f32_e32 v43, v50, v43
	v_fma_f32 v24, 0xbeb58ec6, v46, -v48
	v_dual_add_f32 v14, v23, v14 :: v_dual_mul_f32 v23, 0x3f29c268, v41
	s_delay_alu instid0(VALU_DEP_2) | instskip(NEXT) | instid1(VALU_DEP_2)
	v_add_f32_e32 v24, v24, v26
	v_dual_fmamk_f32 v22, v46, 0xbf3f9e67, v23 :: v_dual_add_f32 v33, v33, v39
	v_fmac_f32_e32 v44, 0xbf6f5d39, v21
	s_delay_alu instid0(VALU_DEP_2) | instskip(SKIP_1) | instid1(VALU_DEP_3)
	v_add_f32_e32 v17, v22, v17
	v_fma_f32 v22, 0xbf3f9e67, v46, -v23
	v_add_f32_e32 v26, v44, v28
	v_fmamk_f32 v28, v21, 0xbf29c268, v45
	v_fmamk_f32 v39, v51, 0xbf3f9e67, v47
	v_mul_f32_e32 v44, 0x3eedf032, v41
	v_add_f32_e32 v20, v22, v20
	v_mul_f32_e32 v47, 0x3df6dbef, v16
	v_add_f32_e32 v23, v28, v27
	v_dual_add_f32 v39, v39, v49 :: v_dual_mul_f32 v28, 0x3f62ad3f, v16
	v_fmamk_f32 v27, v46, 0x3f62ad3f, v44
	v_fma_f32 v44, 0x3f62ad3f, v46, -v44
	s_delay_alu instid0(VALU_DEP_2) | instskip(NEXT) | instid1(VALU_DEP_4)
	v_add_f32_e32 v27, v27, v29
	v_fmamk_f32 v29, v21, 0xbeedf032, v28
	v_fmac_f32_e32 v28, 0x3eedf032, v21
	s_delay_alu instid0(VALU_DEP_4) | instskip(SKIP_1) | instid1(VALU_DEP_4)
	v_add_f32_e32 v32, v44, v32
	v_mul_f32_e32 v44, 0xbf788fa5, v16
	v_dual_mul_f32 v16, 0x3f116cb1, v16 :: v_dual_add_f32 v29, v29, v34
	s_delay_alu instid0(VALU_DEP_4) | instskip(SKIP_1) | instid1(VALU_DEP_2)
	v_dual_add_f32 v28, v28, v35 :: v_dual_fmac_f32 v45, 0x3f29c268, v21
	v_fmamk_f32 v35, v21, 0x3f7e222b, v47
	v_add_f32_e32 v22, v45, v25
	v_mul_f32_e32 v25, 0xbf7e222b, v41
	s_delay_alu instid0(VALU_DEP_3) | instskip(NEXT) | instid1(VALU_DEP_2)
	v_add_f32_e32 v35, v35, v37
	v_fmamk_f32 v45, v46, 0x3df6dbef, v25
	v_fma_f32 v25, 0x3df6dbef, v46, -v25
	s_delay_alu instid0(VALU_DEP_2) | instskip(NEXT) | instid1(VALU_DEP_2)
	v_add_f32_e32 v34, v45, v36
	v_dual_mul_f32 v36, 0x3e750f2a, v41 :: v_dual_add_f32 v25, v25, v31
	v_fmamk_f32 v31, v21, 0xbe750f2a, v44
	v_fmac_f32_e32 v44, 0x3e750f2a, v21
	v_mul_f32_e32 v41, 0x3f52af12, v41
	s_delay_alu instid0(VALU_DEP_4) | instskip(SKIP_1) | instid1(VALU_DEP_1)
	v_fmamk_f32 v37, v46, 0xbf788fa5, v36
	v_fma_f32 v36, 0xbf788fa5, v46, -v36
	v_add_f32_e32 v36, v36, v40
	v_add_f32_e32 v40, v44, v42
	;; [unrolled: 1-line block ×3, first 2 shown]
	v_dual_sub_f32 v10, v10, v19 :: v_dual_add_f32 v37, v37, v38
	v_sub_f32_e32 v38, v11, v18
	v_add_f32_e32 v31, v31, v33
	v_add_f32_e32 v11, v11, v18
	v_fmamk_f32 v33, v46, 0x3f116cb1, v41
	v_fma_f32 v18, 0x3f116cb1, v46, -v41
	v_mul_f32_e32 v44, 0xbf29c268, v38
	s_delay_alu instid0(VALU_DEP_2) | instskip(NEXT) | instid1(VALU_DEP_2)
	v_add_f32_e32 v12, v18, v12
	v_fmamk_f32 v19, v42, 0xbf3f9e67, v44
	v_fmac_f32_e32 v47, 0xbf7e222b, v21
	v_dual_mul_f32 v18, 0x3f7e222b, v38 :: v_dual_add_f32 v33, v33, v39
	v_fmamk_f32 v39, v21, 0xbf52af12, v16
	v_fmac_f32_e32 v16, 0x3f52af12, v21
	v_dual_mul_f32 v21, 0xbf3f9e67, v11 :: v_dual_add_f32 v14, v19, v14
	v_add_f32_e32 v43, v47, v43
	v_fma_f32 v19, 0xbf3f9e67, v42, -v44
	s_delay_alu instid0(VALU_DEP_3) | instskip(SKIP_1) | instid1(VALU_DEP_3)
	v_dual_add_f32 v13, v16, v13 :: v_dual_fmamk_f32 v16, v10, 0x3f29c268, v21
	v_fmac_f32_e32 v21, 0xbf29c268, v10
	v_add_f32_e32 v19, v19, v24
	s_delay_alu instid0(VALU_DEP_3) | instskip(NEXT) | instid1(VALU_DEP_3)
	v_add_f32_e32 v15, v16, v15
	v_add_f32_e32 v21, v21, v26
	v_mul_f32_e32 v26, 0xbf52af12, v38
	v_dual_add_f32 v30, v39, v30 :: v_dual_mul_f32 v39, 0x3df6dbef, v11
	v_fmamk_f32 v16, v42, 0x3df6dbef, v18
	s_delay_alu instid0(VALU_DEP_2) | instskip(NEXT) | instid1(VALU_DEP_2)
	v_fmamk_f32 v24, v10, 0xbf7e222b, v39
	v_add_f32_e32 v16, v16, v17
	v_fma_f32 v17, 0x3df6dbef, v42, -v18
	v_mul_f32_e32 v41, 0xbf788fa5, v11
	s_delay_alu instid0(VALU_DEP_4) | instskip(SKIP_3) | instid1(VALU_DEP_4)
	v_dual_add_f32 v18, v24, v23 :: v_dual_fmamk_f32 v23, v42, 0x3f116cb1, v26
	v_mul_f32_e32 v24, 0x3f116cb1, v11
	v_fma_f32 v26, 0x3f116cb1, v42, -v26
	v_add_f32_e32 v17, v17, v20
	v_add_f32_e32 v23, v23, v27
	s_delay_alu instid0(VALU_DEP_4) | instskip(NEXT) | instid1(VALU_DEP_4)
	v_fmamk_f32 v27, v10, 0x3f52af12, v24
	v_add_f32_e32 v26, v26, v32
	v_mul_f32_e32 v32, 0x3eedf032, v38
	s_delay_alu instid0(VALU_DEP_3) | instskip(NEXT) | instid1(VALU_DEP_1)
	v_dual_fmac_f32 v24, 0xbf52af12, v10 :: v_dual_add_f32 v27, v27, v29
	v_dual_fmamk_f32 v29, v10, 0xbe750f2a, v41 :: v_dual_add_f32 v24, v24, v28
	s_delay_alu instid0(VALU_DEP_1) | instskip(NEXT) | instid1(VALU_DEP_4)
	v_add_f32_e32 v29, v29, v35
	v_fmamk_f32 v35, v42, 0x3f62ad3f, v32
	v_fma_f32 v32, 0x3f62ad3f, v42, -v32
	s_delay_alu instid0(VALU_DEP_1) | instskip(SKIP_1) | instid1(VALU_DEP_2)
	v_dual_add_f32 v32, v32, v36 :: v_dual_fmac_f32 v39, 0x3f7e222b, v10
	v_sub_f32_e32 v36, v8, v9
	v_add_f32_e32 v20, v39, v22
	v_mul_f32_e32 v22, 0x3e750f2a, v38
	v_mul_f32_e32 v38, 0xbf6f5d39, v38
	s_delay_alu instid0(VALU_DEP_2) | instskip(SKIP_1) | instid1(VALU_DEP_2)
	v_fmamk_f32 v39, v42, 0xbf788fa5, v22
	v_fma_f32 v22, 0xbf788fa5, v42, -v22
	v_add_f32_e32 v28, v39, v34
	v_mul_f32_e32 v34, 0x3f62ad3f, v11
	s_delay_alu instid0(VALU_DEP_3) | instskip(NEXT) | instid1(VALU_DEP_2)
	v_dual_add_f32 v22, v22, v25 :: v_dual_mul_f32 v11, 0xbeb58ec6, v11
	v_fmamk_f32 v25, v10, 0xbeedf032, v34
	s_delay_alu instid0(VALU_DEP_1) | instskip(NEXT) | instid1(VALU_DEP_1)
	v_dual_fmac_f32 v34, 0x3eedf032, v10 :: v_dual_add_f32 v25, v25, v31
	v_dual_add_f32 v34, v34, v40 :: v_dual_fmac_f32 v41, 0x3e750f2a, v10
	v_fmamk_f32 v31, v42, 0xbeb58ec6, v38
	v_dual_mul_f32 v40, 0xbe750f2a, v36 :: v_dual_add_f32 v35, v35, v37
	s_delay_alu instid0(VALU_DEP_3) | instskip(SKIP_4) | instid1(VALU_DEP_1)
	v_add_f32_e32 v39, v41, v43
	v_add_f32_e32 v41, v8, v9
	v_fma_f32 v8, 0xbeb58ec6, v42, -v38
	v_sub_f32_e32 v38, v6, v7
	v_add_f32_e32 v37, v6, v7
	v_dual_mul_f32 v9, 0xbf788fa5, v41 :: v_dual_fmamk_f32 v6, v37, 0xbf788fa5, v40
	s_delay_alu instid0(VALU_DEP_1) | instskip(NEXT) | instid1(VALU_DEP_1)
	v_fmamk_f32 v7, v38, 0x3e750f2a, v9
	v_dual_add_f32 v6, v6, v14 :: v_dual_add_f32 v7, v7, v15
	v_mul_f32_e32 v15, 0xbf29c268, v36
	v_add_f32_e32 v31, v31, v33
	v_fmamk_f32 v33, v10, 0x3f6f5d39, v11
	v_fmac_f32_e32 v11, 0xbf6f5d39, v10
	s_delay_alu instid0(VALU_DEP_2) | instskip(NEXT) | instid1(VALU_DEP_2)
	v_add_f32_e32 v30, v33, v30
	v_add_f32_e32 v42, v11, v13
	v_mul_f32_e32 v13, 0x3f62ad3f, v41
	v_add_f32_e32 v33, v8, v12
	v_mul_f32_e32 v11, 0x3eedf032, v36
	s_delay_alu instid0(VALU_DEP_3) | instskip(SKIP_1) | instid1(VALU_DEP_3)
	v_fmamk_f32 v12, v38, 0xbeedf032, v13
	v_fmac_f32_e32 v13, 0x3eedf032, v38
	v_fmamk_f32 v10, v37, 0x3f62ad3f, v11
	v_fma_f32 v14, 0x3f62ad3f, v37, -v11
	s_delay_alu instid0(VALU_DEP_4) | instskip(SKIP_1) | instid1(VALU_DEP_4)
	v_dual_add_f32 v11, v12, v18 :: v_dual_mul_f32 v18, 0xbf3f9e67, v41
	v_fma_f32 v8, 0xbf788fa5, v37, -v40
	v_add_f32_e32 v10, v10, v16
	v_fmamk_f32 v16, v37, 0xbf3f9e67, v15
	v_dual_fmac_f32 v9, 0xbe750f2a, v38 :: v_dual_add_f32 v12, v14, v17
	s_delay_alu instid0(VALU_DEP_4) | instskip(NEXT) | instid1(VALU_DEP_2)
	v_dual_add_f32 v8, v8, v19 :: v_dual_mul_f32 v19, 0x3f52af12, v36
	v_dual_add_f32 v14, v16, v23 :: v_dual_add_f32 v9, v9, v21
	v_fmamk_f32 v16, v38, 0x3f29c268, v18
	v_fma_f32 v17, 0xbf3f9e67, v37, -v15
	v_fmac_f32_e32 v18, 0xbf29c268, v38
	v_mul_f32_e32 v21, 0x3f116cb1, v41
	v_dual_mul_f32 v40, 0xbeb58ec6, v41 :: v_dual_add_f32 v13, v13, v20
	v_dual_fmamk_f32 v20, v37, 0x3f116cb1, v19 :: v_dual_add_f32 v15, v16, v27
	s_delay_alu instid0(VALU_DEP_4) | instskip(SKIP_1) | instid1(VALU_DEP_3)
	v_dual_add_f32 v16, v17, v26 :: v_dual_add_f32 v17, v18, v24
	v_fma_f32 v23, 0x3f116cb1, v37, -v19
	v_add_f32_e32 v18, v20, v28
	v_fmamk_f32 v20, v38, 0xbf52af12, v21
	v_mul_f32_e32 v24, 0xbf6f5d39, v36
	v_mul_f32_e32 v26, 0x3f7e222b, v36
	v_fmac_f32_e32 v21, 0x3f52af12, v38
	s_delay_alu instid0(VALU_DEP_4)
	v_dual_add_f32 v19, v20, v29 :: v_dual_add_f32 v20, v23, v22
	v_fmamk_f32 v23, v38, 0x3f6f5d39, v40
	v_mul_f32_e32 v29, 0x3df6dbef, v41
	v_fmamk_f32 v22, v37, 0xbeb58ec6, v24
	v_fma_f32 v28, 0x3df6dbef, v37, -v26
	v_fma_f32 v24, 0xbeb58ec6, v37, -v24
	v_add_f32_e32 v23, v23, v25
	v_fmamk_f32 v25, v37, 0x3df6dbef, v26
	v_fmamk_f32 v27, v38, 0xbf7e222b, v29
	v_fmac_f32_e32 v29, 0x3f7e222b, v38
	v_fmac_f32_e32 v40, 0xbf6f5d39, v38
	v_add_f32_e32 v22, v22, v35
	s_delay_alu instid0(VALU_DEP_4) | instskip(NEXT) | instid1(VALU_DEP_4)
	v_dual_add_f32 v26, v25, v31 :: v_dual_add_f32 v27, v27, v30
	v_dual_add_f32 v28, v28, v33 :: v_dual_add_f32 v29, v29, v42
	;; [unrolled: 1-line block ×3, first 2 shown]
	v_add_f32_e32 v25, v40, v34
	ds_store_2addr_b64 v118, v[0:1], v[6:7] offset1:78
	ds_store_2addr_b64 v118, v[10:11], v[14:15] offset0:156 offset1:234
	ds_store_2addr_b64 v5, v[18:19], v[22:23] offset0:56 offset1:134
	;; [unrolled: 1-line block ×5, first 2 shown]
	ds_store_b64 v118, v[8:9] offset:7488
	global_wb scope:SCOPE_SE
	s_wait_dscnt 0x0
	s_barrier_signal -1
	s_barrier_wait -1
	global_inv scope:SCOPE_SE
	ds_load_2addr_b64 v[6:9], v118 offset1:78
	v_mad_co_u64_u32 v[22:23], null, s6, v96, 0
	v_mad_co_u64_u32 v[24:25], null, s4, v117, 0
	s_wait_dscnt 0x0
	v_mul_f32_e32 v0, v108, v7
	v_dual_mul_f32 v1, v108, v6 :: v_dual_mul_f32 v12, v110, v8
	s_delay_alu instid0(VALU_DEP_2) | instskip(NEXT) | instid1(VALU_DEP_2)
	v_fmac_f32_e32 v0, v107, v6
	v_fma_f32 v7, v107, v7, -v1
	v_mul_f32_e32 v6, v110, v9
	s_delay_alu instid0(VALU_DEP_3) | instskip(NEXT) | instid1(VALU_DEP_3)
	v_cvt_f64_f32_e32 v[0:1], v0
	v_cvt_f64_f32_e32 v[10:11], v7
	s_delay_alu instid0(VALU_DEP_3) | instskip(SKIP_1) | instid1(VALU_DEP_2)
	v_fmac_f32_e32 v6, v109, v8
	v_fma_f32 v7, v109, v9, -v12
	v_cvt_f64_f32_e32 v[12:13], v6
	s_delay_alu instid0(VALU_DEP_2) | instskip(SKIP_3) | instid1(VALU_DEP_1)
	v_cvt_f64_f32_e32 v[14:15], v7
	ds_load_2addr_b64 v[6:9], v118 offset0:156 offset1:234
	s_wait_dscnt 0x0
	v_mul_f32_e32 v20, v106, v7
	v_fmac_f32_e32 v20, v105, v6
	s_wait_alu 0xfffe
	v_mul_f64_e32 v[0:1], s[2:3], v[0:1]
	v_mul_f64_e32 v[16:17], s[2:3], v[10:11]
	v_dual_mov_b32 v10, v23 :: v_dual_mov_b32 v11, v25
	v_cvt_f64_f32_e32 v[20:21], v20
	v_mul_f64_e32 v[18:19], s[2:3], v[12:13]
	v_mul_f64_e32 v[14:15], s[2:3], v[14:15]
	s_delay_alu instid0(VALU_DEP_4)
	v_mad_co_u64_u32 v[25:26], null, s7, v96, v[10:11]
	v_mad_co_u64_u32 v[26:27], null, s5, v117, v[11:12]
	ds_load_2addr_b64 v[10:13], v5 offset0:56 offset1:134
	v_mov_b32_e32 v23, v25
	s_wait_dscnt 0x0
	v_dual_mov_b32 v25, v26 :: v_dual_mul_f32 v30, v104, v11
	v_mul_f32_e32 v34, v89, v13
	v_cvt_f32_f64_e32 v26, v[0:1]
	v_mul_f32_e32 v0, v106, v6
	v_mul_f32_e32 v1, v102, v9
	v_cvt_f32_f64_e32 v27, v[16:17]
	v_fmac_f32_e32 v30, v103, v10
	v_fmac_f32_e32 v34, v88, v12
	v_fma_f32 v0, v105, v7, -v0
	ds_load_2addr_b64 v[4:7], v4 offset0:84 offset1:162
	v_cvt_f32_f64_e32 v18, v[18:19]
	v_cvt_f32_f64_e32 v19, v[14:15]
	v_mul_f64_e32 v[14:15], s[2:3], v[20:21]
	v_cvt_f64_f32_e32 v[20:21], v0
	v_mul_f32_e32 v0, v102, v8
	v_mul_f32_e32 v12, v89, v12
	v_cvt_f64_f32_e32 v[30:31], v30
	v_cvt_f64_f32_e32 v[34:35], v34
	s_delay_alu instid0(VALU_DEP_4) | instskip(NEXT) | instid1(VALU_DEP_4)
	v_fma_f32 v0, v101, v9, -v0
	v_fma_f32 v12, v88, v13, -v12
	s_delay_alu instid0(VALU_DEP_2) | instskip(SKIP_4) | instid1(VALU_DEP_3)
	v_cvt_f64_f32_e32 v[28:29], v0
	s_wait_dscnt 0x0
	v_mul_f32_e32 v36, v93, v5
	v_dual_mul_f32 v38, v95, v7 :: v_dual_fmac_f32 v1, v101, v8
	v_mul_f32_e32 v8, v104, v10
	v_fmac_f32_e32 v36, v92, v4
	s_delay_alu instid0(VALU_DEP_3)
	v_fmac_f32_e32 v38, v94, v6
	v_lshlrev_b64_e32 v[16:17], 3, v[22:23]
	v_lshlrev_b64_e32 v[22:23], 3, v[24:25]
	v_cvt_f64_f32_e32 v[24:25], v1
	v_fma_f32 v1, v103, v11, -v8
	ds_load_2addr_b64 v[8:11], v3 offset0:112 offset1:190
	v_add_co_u32 v52, vcc_lo, s0, v16
	v_cvt_f64_f32_e32 v[32:33], v1
	ds_load_2addr_b64 v[0:3], v2 offset0:12 offset1:90
	v_mul_f32_e32 v37, v93, v4
	s_wait_alu 0xfffd
	v_add_co_ci_u32_e32 v53, vcc_lo, s1, v17, vcc_lo
	v_add_co_u32 v22, vcc_lo, v52, v22
	v_mul_f64_e32 v[20:21], s[2:3], v[20:21]
	s_wait_alu 0xfffd
	s_delay_alu instid0(VALU_DEP_3)
	v_add_co_ci_u32_e32 v23, vcc_lo, v53, v23, vcc_lo
	s_mul_u64 s[0:1], s[4:5], 0x270
	v_mul_f64_e32 v[34:35], s[2:3], v[34:35]
	v_cvt_f32_f64_e32 v14, v[14:15]
	s_wait_dscnt 0x1
	v_dual_mul_f32 v42, v85, v9 :: v_dual_mul_f32 v13, v95, v6
	v_dual_mul_f32 v44, v91, v11 :: v_dual_mul_f32 v43, v85, v8
	s_wait_dscnt 0x0
	v_mul_f32_e32 v46, v87, v1
	v_fma_f32 v37, v92, v5, -v37
	s_delay_alu instid0(VALU_DEP_3)
	v_fmac_f32_e32 v44, v90, v10
	v_cvt_f64_f32_e32 v[4:5], v12
	v_fmac_f32_e32 v42, v84, v8
	v_fma_f32 v40, v94, v7, -v13
	v_cvt_f64_f32_e32 v[6:7], v36
	v_cvt_f64_f32_e32 v[12:13], v37
	;; [unrolled: 1-line block ×3, first 2 shown]
	ds_load_b64 v[38:39], v118 offset:7488
	v_dual_mul_f32 v45, v91, v10 :: v_dual_fmac_f32 v46, v86, v0
	v_dual_mul_f32 v0, v87, v0 :: v_dual_mul_f32 v49, v98, v2
	v_mul_f32_e32 v48, v98, v3
	v_fma_f32 v43, v84, v9, -v43
	s_delay_alu instid0(VALU_DEP_4)
	v_fma_f32 v45, v90, v11, -v45
	v_cvt_f64_f32_e32 v[40:41], v40
	v_fma_f32 v0, v86, v1, -v0
	v_fma_f32 v49, v97, v3, -v49
	v_cvt_f64_f32_e32 v[8:9], v42
	v_cvt_f64_f32_e32 v[10:11], v43
	;; [unrolled: 1-line block ×6, first 2 shown]
	v_mul_f64_e32 v[16:17], s[2:3], v[24:25]
	v_mul_f64_e32 v[24:25], s[2:3], v[28:29]
	;; [unrolled: 1-line block ×3, first 2 shown]
	s_wait_dscnt 0x0
	v_mul_f32_e32 v51, v100, v38
	v_mul_f32_e32 v50, v100, v39
	v_fmac_f32_e32 v48, v97, v2
	v_mul_f64_e32 v[30:31], s[2:3], v[32:33]
	s_wait_alu 0xfffe
	v_add_co_u32 v32, vcc_lo, v22, s0
	v_fmac_f32_e32 v50, v99, v38
	v_fma_f32 v51, v99, v39, -v51
	v_cvt_f64_f32_e32 v[2:3], v48
	v_cvt_f64_f32_e32 v[38:39], v49
	s_wait_alu 0xfffd
	v_add_co_ci_u32_e32 v33, vcc_lo, s1, v23, vcc_lo
	v_cvt_f64_f32_e32 v[48:49], v50
	v_cvt_f64_f32_e32 v[50:51], v51
	v_mul_f64_e32 v[4:5], s[2:3], v[4:5]
	v_mul_f64_e32 v[6:7], s[2:3], v[6:7]
	;; [unrolled: 1-line block ×3, first 2 shown]
	s_clause 0x1
	global_store_b64 v[22:23], v[26:27], off
	global_store_b64 v[32:33], v[18:19], off
	v_mul_f64_e32 v[18:19], s[2:3], v[36:37]
	v_cvt_f32_f64_e32 v15, v[20:21]
	v_add_co_u32 v20, vcc_lo, v32, s0
	s_wait_alu 0xfffd
	v_add_co_ci_u32_e32 v21, vcc_lo, s1, v33, vcc_lo
	v_cvt_f32_f64_e32 v32, v[34:35]
	v_mul_f64_e32 v[22:23], s[2:3], v[40:41]
	v_mul_f64_e32 v[8:9], s[2:3], v[8:9]
	;; [unrolled: 1-line block ×7, first 2 shown]
	v_cvt_f32_f64_e32 v16, v[16:17]
	v_cvt_f32_f64_e32 v17, v[24:25]
	;; [unrolled: 1-line block ×3, first 2 shown]
	v_add_co_u32 v24, vcc_lo, v20, s0
	s_wait_alu 0xfffd
	v_add_co_ci_u32_e32 v25, vcc_lo, s1, v21, vcc_lo
	v_cvt_f32_f64_e32 v29, v[30:31]
	s_delay_alu instid0(VALU_DEP_3) | instskip(SKIP_1) | instid1(VALU_DEP_3)
	v_add_co_u32 v30, vcc_lo, v24, s0
	s_wait_alu 0xfffd
	v_add_co_ci_u32_e32 v31, vcc_lo, s1, v25, vcc_lo
	v_mul_f64_e32 v[2:3], s[2:3], v[2:3]
	v_mul_f64_e32 v[38:39], s[2:3], v[38:39]
	;; [unrolled: 1-line block ×4, first 2 shown]
	v_cvt_f32_f64_e32 v33, v[4:5]
	v_cvt_f32_f64_e32 v4, v[6:7]
	;; [unrolled: 1-line block ×3, first 2 shown]
	v_add_co_u32 v6, vcc_lo, v30, s0
	v_cvt_f32_f64_e32 v12, v[18:19]
	s_wait_alu 0xfffd
	v_add_co_ci_u32_e32 v7, vcc_lo, s1, v31, vcc_lo
	global_store_b64 v[20:21], v[14:15], off
	v_cvt_f32_f64_e32 v13, v[22:23]
	v_add_co_u32 v22, vcc_lo, v6, s0
	v_cvt_f32_f64_e32 v8, v[8:9]
	v_cvt_f32_f64_e32 v9, v[10:11]
	;; [unrolled: 1-line block ×6, first 2 shown]
	s_wait_alu 0xfffd
	v_add_co_ci_u32_e32 v23, vcc_lo, s1, v7, vcc_lo
	v_add_co_u32 v14, vcc_lo, v22, s0
	global_store_b64 v[24:25], v[16:17], off
	s_wait_alu 0xfffd
	v_add_co_ci_u32_e32 v15, vcc_lo, s1, v23, vcc_lo
	v_add_co_u32 v16, vcc_lo, v14, s0
	global_store_b64 v[30:31], v[28:29], off
	s_wait_alu 0xfffd
	v_add_co_ci_u32_e32 v17, vcc_lo, s1, v15, vcc_lo
	v_cvt_f32_f64_e32 v0, v[2:3]
	v_cvt_f32_f64_e32 v1, v[38:39]
	v_add_co_u32 v20, vcc_lo, v16, s0
	v_cvt_f32_f64_e32 v2, v[42:43]
	v_cvt_f32_f64_e32 v3, v[44:45]
	s_wait_alu 0xfffd
	v_add_co_ci_u32_e32 v21, vcc_lo, s1, v17, vcc_lo
	global_store_b64 v[6:7], v[32:33], off
	v_add_co_u32 v6, vcc_lo, v20, s0
	s_wait_alu 0xfffd
	v_add_co_ci_u32_e32 v7, vcc_lo, s1, v21, vcc_lo
	global_store_b64 v[22:23], v[4:5], off
	v_add_co_u32 v4, vcc_lo, v6, s0
	;; [unrolled: 4-line block ×3, first 2 shown]
	s_wait_alu 0xfffd
	v_add_co_ci_u32_e32 v13, vcc_lo, s1, v5, vcc_lo
	global_store_b64 v[16:17], v[8:9], off
	global_store_b64 v[20:21], v[10:11], off
	;; [unrolled: 1-line block ×5, first 2 shown]
.LBB0_10:
	s_nop 0
	s_sendmsg sendmsg(MSG_DEALLOC_VGPRS)
	s_endpgm
	.section	.rodata,"a",@progbits
	.p2align	6, 0x0
	.amdhsa_kernel bluestein_single_back_len1014_dim1_sp_op_CI_CI
		.amdhsa_group_segment_fixed_size 16224
		.amdhsa_private_segment_fixed_size 0
		.amdhsa_kernarg_size 104
		.amdhsa_user_sgpr_count 2
		.amdhsa_user_sgpr_dispatch_ptr 0
		.amdhsa_user_sgpr_queue_ptr 0
		.amdhsa_user_sgpr_kernarg_segment_ptr 1
		.amdhsa_user_sgpr_dispatch_id 0
		.amdhsa_user_sgpr_private_segment_size 0
		.amdhsa_wavefront_size32 1
		.amdhsa_uses_dynamic_stack 0
		.amdhsa_enable_private_segment 0
		.amdhsa_system_sgpr_workgroup_id_x 1
		.amdhsa_system_sgpr_workgroup_id_y 0
		.amdhsa_system_sgpr_workgroup_id_z 0
		.amdhsa_system_sgpr_workgroup_info 0
		.amdhsa_system_vgpr_workitem_id 0
		.amdhsa_next_free_vgpr 245
		.amdhsa_next_free_sgpr 20
		.amdhsa_reserve_vcc 1
		.amdhsa_float_round_mode_32 0
		.amdhsa_float_round_mode_16_64 0
		.amdhsa_float_denorm_mode_32 3
		.amdhsa_float_denorm_mode_16_64 3
		.amdhsa_fp16_overflow 0
		.amdhsa_workgroup_processor_mode 1
		.amdhsa_memory_ordered 1
		.amdhsa_forward_progress 0
		.amdhsa_round_robin_scheduling 0
		.amdhsa_exception_fp_ieee_invalid_op 0
		.amdhsa_exception_fp_denorm_src 0
		.amdhsa_exception_fp_ieee_div_zero 0
		.amdhsa_exception_fp_ieee_overflow 0
		.amdhsa_exception_fp_ieee_underflow 0
		.amdhsa_exception_fp_ieee_inexact 0
		.amdhsa_exception_int_div_zero 0
	.end_amdhsa_kernel
	.text
.Lfunc_end0:
	.size	bluestein_single_back_len1014_dim1_sp_op_CI_CI, .Lfunc_end0-bluestein_single_back_len1014_dim1_sp_op_CI_CI
                                        ; -- End function
	.section	.AMDGPU.csdata,"",@progbits
; Kernel info:
; codeLenInByte = 18732
; NumSgprs: 22
; NumVgprs: 245
; ScratchSize: 0
; MemoryBound: 0
; FloatMode: 240
; IeeeMode: 1
; LDSByteSize: 16224 bytes/workgroup (compile time only)
; SGPRBlocks: 2
; VGPRBlocks: 30
; NumSGPRsForWavesPerEU: 22
; NumVGPRsForWavesPerEU: 245
; Occupancy: 5
; WaveLimiterHint : 1
; COMPUTE_PGM_RSRC2:SCRATCH_EN: 0
; COMPUTE_PGM_RSRC2:USER_SGPR: 2
; COMPUTE_PGM_RSRC2:TRAP_HANDLER: 0
; COMPUTE_PGM_RSRC2:TGID_X_EN: 1
; COMPUTE_PGM_RSRC2:TGID_Y_EN: 0
; COMPUTE_PGM_RSRC2:TGID_Z_EN: 0
; COMPUTE_PGM_RSRC2:TIDIG_COMP_CNT: 0
	.text
	.p2alignl 7, 3214868480
	.fill 96, 4, 3214868480
	.type	__hip_cuid_2bd7782b6987e6f5,@object ; @__hip_cuid_2bd7782b6987e6f5
	.section	.bss,"aw",@nobits
	.globl	__hip_cuid_2bd7782b6987e6f5
__hip_cuid_2bd7782b6987e6f5:
	.byte	0                               ; 0x0
	.size	__hip_cuid_2bd7782b6987e6f5, 1

	.ident	"AMD clang version 19.0.0git (https://github.com/RadeonOpenCompute/llvm-project roc-6.4.0 25133 c7fe45cf4b819c5991fe208aaa96edf142730f1d)"
	.section	".note.GNU-stack","",@progbits
	.addrsig
	.addrsig_sym __hip_cuid_2bd7782b6987e6f5
	.amdgpu_metadata
---
amdhsa.kernels:
  - .args:
      - .actual_access:  read_only
        .address_space:  global
        .offset:         0
        .size:           8
        .value_kind:     global_buffer
      - .actual_access:  read_only
        .address_space:  global
        .offset:         8
        .size:           8
        .value_kind:     global_buffer
      - .actual_access:  read_only
        .address_space:  global
        .offset:         16
        .size:           8
        .value_kind:     global_buffer
      - .actual_access:  read_only
        .address_space:  global
        .offset:         24
        .size:           8
        .value_kind:     global_buffer
      - .actual_access:  read_only
        .address_space:  global
        .offset:         32
        .size:           8
        .value_kind:     global_buffer
      - .offset:         40
        .size:           8
        .value_kind:     by_value
      - .address_space:  global
        .offset:         48
        .size:           8
        .value_kind:     global_buffer
      - .address_space:  global
        .offset:         56
        .size:           8
        .value_kind:     global_buffer
      - .address_space:  global
        .offset:         64
        .size:           8
        .value_kind:     global_buffer
      - .address_space:  global
        .offset:         72
        .size:           8
        .value_kind:     global_buffer
      - .offset:         80
        .size:           4
        .value_kind:     by_value
      - .address_space:  global
        .offset:         88
        .size:           8
        .value_kind:     global_buffer
      - .address_space:  global
        .offset:         96
        .size:           8
        .value_kind:     global_buffer
    .group_segment_fixed_size: 16224
    .kernarg_segment_align: 8
    .kernarg_segment_size: 104
    .language:       OpenCL C
    .language_version:
      - 2
      - 0
    .max_flat_workgroup_size: 156
    .name:           bluestein_single_back_len1014_dim1_sp_op_CI_CI
    .private_segment_fixed_size: 0
    .sgpr_count:     22
    .sgpr_spill_count: 0
    .symbol:         bluestein_single_back_len1014_dim1_sp_op_CI_CI.kd
    .uniform_work_group_size: 1
    .uses_dynamic_stack: false
    .vgpr_count:     245
    .vgpr_spill_count: 0
    .wavefront_size: 32
    .workgroup_processor_mode: 1
amdhsa.target:   amdgcn-amd-amdhsa--gfx1201
amdhsa.version:
  - 1
  - 2
...

	.end_amdgpu_metadata
